;; amdgpu-corpus repo=ROCm/rocFFT kind=compiled arch=gfx906 opt=O3
	.text
	.amdgcn_target "amdgcn-amd-amdhsa--gfx906"
	.amdhsa_code_object_version 6
	.protected	fft_rtc_fwd_len680_factors_17_4_10_wgs_204_tpt_68_halfLds_dp_op_CI_CI_unitstride_sbrr_dirReg ; -- Begin function fft_rtc_fwd_len680_factors_17_4_10_wgs_204_tpt_68_halfLds_dp_op_CI_CI_unitstride_sbrr_dirReg
	.globl	fft_rtc_fwd_len680_factors_17_4_10_wgs_204_tpt_68_halfLds_dp_op_CI_CI_unitstride_sbrr_dirReg
	.p2align	8
	.type	fft_rtc_fwd_len680_factors_17_4_10_wgs_204_tpt_68_halfLds_dp_op_CI_CI_unitstride_sbrr_dirReg,@function
fft_rtc_fwd_len680_factors_17_4_10_wgs_204_tpt_68_halfLds_dp_op_CI_CI_unitstride_sbrr_dirReg: ; @fft_rtc_fwd_len680_factors_17_4_10_wgs_204_tpt_68_halfLds_dp_op_CI_CI_unitstride_sbrr_dirReg
; %bb.0:
	s_load_dwordx4 s[8:11], s[4:5], 0x58
	s_load_dwordx4 s[12:15], s[4:5], 0x0
	;; [unrolled: 1-line block ×3, first 2 shown]
	v_mul_u32_u24_e32 v1, 0x3c4, v0
	v_lshrrev_b32_e32 v1, 16, v1
	v_mad_u64_u32 v[76:77], s[0:1], s6, 3, v[1:2]
	v_mov_b32_e32 v1, 0
	v_mov_b32_e32 v4, 0
	;; [unrolled: 1-line block ×3, first 2 shown]
	s_waitcnt lgkmcnt(0)
	v_cmp_lt_u64_e64 s[0:1], s[14:15], 2
	v_mov_b32_e32 v5, 0
	v_mov_b32_e32 v97, v5
	;; [unrolled: 1-line block ×3, first 2 shown]
	s_and_b64 vcc, exec, s[0:1]
	v_mov_b32_e32 v96, v4
	v_mov_b32_e32 v98, v76
	s_cbranch_vccnz .LBB0_8
; %bb.1:
	s_load_dwordx2 s[0:1], s[4:5], 0x10
	s_add_u32 s2, s18, 8
	s_addc_u32 s3, s19, 0
	s_add_u32 s6, s16, 8
	v_mov_b32_e32 v4, 0
	s_addc_u32 s7, s17, 0
	v_mov_b32_e32 v5, 0
	s_waitcnt lgkmcnt(0)
	s_add_u32 s20, s0, 8
	v_mov_b32_e32 v97, v5
	v_mov_b32_e32 v6, v76
	s_addc_u32 s21, s1, 0
	s_mov_b64 s[22:23], 1
	v_mov_b32_e32 v96, v4
	v_mov_b32_e32 v7, v77
.LBB0_2:                                ; =>This Inner Loop Header: Depth=1
	s_load_dwordx2 s[24:25], s[20:21], 0x0
                                        ; implicit-def: $vgpr98_vgpr99
	s_waitcnt lgkmcnt(0)
	v_or_b32_e32 v2, s25, v7
	v_cmp_ne_u64_e32 vcc, 0, v[1:2]
	s_and_saveexec_b64 s[0:1], vcc
	s_xor_b64 s[26:27], exec, s[0:1]
	s_cbranch_execz .LBB0_4
; %bb.3:                                ;   in Loop: Header=BB0_2 Depth=1
	v_cvt_f32_u32_e32 v2, s24
	v_cvt_f32_u32_e32 v3, s25
	s_sub_u32 s0, 0, s24
	s_subb_u32 s1, 0, s25
	v_mac_f32_e32 v2, 0x4f800000, v3
	v_rcp_f32_e32 v2, v2
	v_mul_f32_e32 v2, 0x5f7ffffc, v2
	v_mul_f32_e32 v3, 0x2f800000, v2
	v_trunc_f32_e32 v3, v3
	v_mac_f32_e32 v2, 0xcf800000, v3
	v_cvt_u32_f32_e32 v3, v3
	v_cvt_u32_f32_e32 v2, v2
	v_mul_lo_u32 v8, s0, v3
	v_mul_hi_u32 v9, s0, v2
	v_mul_lo_u32 v11, s1, v2
	v_mul_lo_u32 v10, s0, v2
	v_add_u32_e32 v8, v9, v8
	v_add_u32_e32 v8, v8, v11
	v_mul_hi_u32 v9, v2, v10
	v_mul_lo_u32 v11, v2, v8
	v_mul_hi_u32 v13, v2, v8
	v_mul_hi_u32 v12, v3, v10
	v_mul_lo_u32 v10, v3, v10
	v_mul_hi_u32 v14, v3, v8
	v_add_co_u32_e32 v9, vcc, v9, v11
	v_addc_co_u32_e32 v11, vcc, 0, v13, vcc
	v_mul_lo_u32 v8, v3, v8
	v_add_co_u32_e32 v9, vcc, v9, v10
	v_addc_co_u32_e32 v9, vcc, v11, v12, vcc
	v_addc_co_u32_e32 v10, vcc, 0, v14, vcc
	v_add_co_u32_e32 v8, vcc, v9, v8
	v_addc_co_u32_e32 v9, vcc, 0, v10, vcc
	v_add_co_u32_e32 v2, vcc, v2, v8
	v_addc_co_u32_e32 v3, vcc, v3, v9, vcc
	v_mul_lo_u32 v8, s0, v3
	v_mul_hi_u32 v9, s0, v2
	v_mul_lo_u32 v10, s1, v2
	v_mul_lo_u32 v11, s0, v2
	v_add_u32_e32 v8, v9, v8
	v_add_u32_e32 v8, v8, v10
	v_mul_lo_u32 v12, v2, v8
	v_mul_hi_u32 v13, v2, v11
	v_mul_hi_u32 v14, v2, v8
	;; [unrolled: 1-line block ×3, first 2 shown]
	v_mul_lo_u32 v11, v3, v11
	v_mul_hi_u32 v9, v3, v8
	v_add_co_u32_e32 v12, vcc, v13, v12
	v_addc_co_u32_e32 v13, vcc, 0, v14, vcc
	v_mul_lo_u32 v8, v3, v8
	v_add_co_u32_e32 v11, vcc, v12, v11
	v_addc_co_u32_e32 v10, vcc, v13, v10, vcc
	v_addc_co_u32_e32 v9, vcc, 0, v9, vcc
	v_add_co_u32_e32 v8, vcc, v10, v8
	v_addc_co_u32_e32 v9, vcc, 0, v9, vcc
	v_add_co_u32_e32 v8, vcc, v2, v8
	v_addc_co_u32_e32 v9, vcc, v3, v9, vcc
	v_mad_u64_u32 v[2:3], s[0:1], v6, v9, 0
	v_mul_hi_u32 v10, v6, v8
	v_add_co_u32_e32 v10, vcc, v10, v2
	v_addc_co_u32_e32 v11, vcc, 0, v3, vcc
	v_mad_u64_u32 v[2:3], s[0:1], v7, v8, 0
	v_mad_u64_u32 v[8:9], s[0:1], v7, v9, 0
	v_add_co_u32_e32 v2, vcc, v10, v2
	v_addc_co_u32_e32 v2, vcc, v11, v3, vcc
	v_addc_co_u32_e32 v3, vcc, 0, v9, vcc
	v_add_co_u32_e32 v8, vcc, v2, v8
	v_addc_co_u32_e32 v9, vcc, 0, v3, vcc
	v_mul_lo_u32 v10, s25, v8
	v_mul_lo_u32 v11, s24, v9
	v_mad_u64_u32 v[2:3], s[0:1], s24, v8, 0
	v_add3_u32 v3, v3, v11, v10
	v_sub_u32_e32 v10, v7, v3
	v_mov_b32_e32 v11, s25
	v_sub_co_u32_e32 v2, vcc, v6, v2
	v_subb_co_u32_e64 v10, s[0:1], v10, v11, vcc
	v_subrev_co_u32_e64 v11, s[0:1], s24, v2
	v_subbrev_co_u32_e64 v10, s[0:1], 0, v10, s[0:1]
	v_cmp_le_u32_e64 s[0:1], s25, v10
	v_cndmask_b32_e64 v12, 0, -1, s[0:1]
	v_cmp_le_u32_e64 s[0:1], s24, v11
	v_cndmask_b32_e64 v11, 0, -1, s[0:1]
	v_cmp_eq_u32_e64 s[0:1], s25, v10
	v_cndmask_b32_e64 v10, v12, v11, s[0:1]
	v_add_co_u32_e64 v11, s[0:1], 2, v8
	v_addc_co_u32_e64 v12, s[0:1], 0, v9, s[0:1]
	v_add_co_u32_e64 v13, s[0:1], 1, v8
	v_addc_co_u32_e64 v14, s[0:1], 0, v9, s[0:1]
	v_subb_co_u32_e32 v3, vcc, v7, v3, vcc
	v_cmp_ne_u32_e64 s[0:1], 0, v10
	v_cmp_le_u32_e32 vcc, s25, v3
	v_cndmask_b32_e64 v10, v14, v12, s[0:1]
	v_cndmask_b32_e64 v12, 0, -1, vcc
	v_cmp_le_u32_e32 vcc, s24, v2
	v_cndmask_b32_e64 v2, 0, -1, vcc
	v_cmp_eq_u32_e32 vcc, s25, v3
	v_cndmask_b32_e32 v2, v12, v2, vcc
	v_cmp_ne_u32_e32 vcc, 0, v2
	v_cndmask_b32_e64 v2, v13, v11, s[0:1]
	v_cndmask_b32_e32 v99, v9, v10, vcc
	v_cndmask_b32_e32 v98, v8, v2, vcc
.LBB0_4:                                ;   in Loop: Header=BB0_2 Depth=1
	s_andn2_saveexec_b64 s[0:1], s[26:27]
	s_cbranch_execz .LBB0_6
; %bb.5:                                ;   in Loop: Header=BB0_2 Depth=1
	v_cvt_f32_u32_e32 v2, s24
	s_sub_i32 s26, 0, s24
	v_mov_b32_e32 v99, v1
	v_rcp_iflag_f32_e32 v2, v2
	v_mul_f32_e32 v2, 0x4f7ffffe, v2
	v_cvt_u32_f32_e32 v2, v2
	v_mul_lo_u32 v3, s26, v2
	v_mul_hi_u32 v3, v2, v3
	v_add_u32_e32 v2, v2, v3
	v_mul_hi_u32 v2, v6, v2
	v_mul_lo_u32 v3, v2, s24
	v_add_u32_e32 v8, 1, v2
	v_sub_u32_e32 v3, v6, v3
	v_subrev_u32_e32 v9, s24, v3
	v_cmp_le_u32_e32 vcc, s24, v3
	v_cndmask_b32_e32 v3, v3, v9, vcc
	v_cndmask_b32_e32 v2, v2, v8, vcc
	v_add_u32_e32 v8, 1, v2
	v_cmp_le_u32_e32 vcc, s24, v3
	v_cndmask_b32_e32 v98, v2, v8, vcc
.LBB0_6:                                ;   in Loop: Header=BB0_2 Depth=1
	s_or_b64 exec, exec, s[0:1]
	v_mul_lo_u32 v8, v99, s24
	v_mul_lo_u32 v9, v98, s25
	v_mad_u64_u32 v[2:3], s[0:1], v98, s24, 0
	s_load_dwordx2 s[0:1], s[6:7], 0x0
	s_load_dwordx2 s[24:25], s[2:3], 0x0
	v_add3_u32 v3, v3, v9, v8
	v_sub_co_u32_e32 v2, vcc, v6, v2
	v_subb_co_u32_e32 v3, vcc, v7, v3, vcc
	s_waitcnt lgkmcnt(0)
	v_mul_lo_u32 v6, s0, v3
	v_mul_lo_u32 v7, s1, v2
	v_mad_u64_u32 v[4:5], s[0:1], s0, v2, v[4:5]
	v_mul_lo_u32 v3, s24, v3
	v_mul_lo_u32 v8, s25, v2
	v_mad_u64_u32 v[96:97], s[0:1], s24, v2, v[96:97]
	s_add_u32 s22, s22, 1
	s_addc_u32 s23, s23, 0
	s_add_u32 s2, s2, 8
	v_add3_u32 v97, v8, v97, v3
	s_addc_u32 s3, s3, 0
	v_mov_b32_e32 v2, s14
	s_add_u32 s6, s6, 8
	v_mov_b32_e32 v3, s15
	s_addc_u32 s7, s7, 0
	v_cmp_ge_u64_e32 vcc, s[22:23], v[2:3]
	s_add_u32 s20, s20, 8
	v_add3_u32 v5, v7, v5, v6
	s_addc_u32 s21, s21, 0
	s_cbranch_vccnz .LBB0_8
; %bb.7:                                ;   in Loop: Header=BB0_2 Depth=1
	v_mov_b32_e32 v6, v98
	v_mov_b32_e32 v7, v99
	s_branch .LBB0_2
.LBB0_8:
	s_lshl_b64 s[14:15], s[14:15], 3
	s_load_dwordx2 s[0:1], s[4:5], 0x28
	s_add_u32 s2, s18, s14
	s_mov_b32 s3, 0x3c3c3c4
	v_mul_hi_u32 v1, v0, s3
	s_addc_u32 s3, s19, s15
	s_load_dwordx2 s[4:5], s[2:3], 0x0
	s_waitcnt lgkmcnt(0)
	v_cmp_gt_u64_e32 vcc, s[0:1], v[98:99]
	v_mul_u32_u24_e32 v1, 0x44, v1
	v_sub_u32_e32 v101, v0, v1
	v_mov_b32_e32 v100, 0
                                        ; implicit-def: $vgpr34_vgpr35
                                        ; implicit-def: $vgpr38_vgpr39
                                        ; implicit-def: $vgpr10_vgpr11
                                        ; implicit-def: $vgpr74_vgpr75
                                        ; implicit-def: $vgpr62_vgpr63
                                        ; implicit-def: $vgpr58_vgpr59
                                        ; implicit-def: $vgpr22_vgpr23
                                        ; implicit-def: $vgpr26_vgpr27
                                        ; implicit-def: $vgpr30_vgpr31
                                        ; implicit-def: $vgpr46_vgpr47
                                        ; implicit-def: $vgpr50_vgpr51
                                        ; implicit-def: $vgpr54_vgpr55
                                        ; implicit-def: $vgpr66_vgpr67
                                        ; implicit-def: $vgpr70_vgpr71
                                        ; implicit-def: $vgpr18_vgpr19
                                        ; implicit-def: $vgpr42_vgpr43
                                        ; implicit-def: $vgpr2_vgpr3
	s_and_saveexec_b64 s[2:3], vcc
	s_cbranch_execz .LBB0_12
; %bb.9:
	v_cmp_gt_u32_e64 s[0:1], 40, v101
                                        ; implicit-def: $vgpr0_vgpr1
                                        ; implicit-def: $vgpr40_vgpr41
                                        ; implicit-def: $vgpr16_vgpr17
                                        ; implicit-def: $vgpr68_vgpr69
                                        ; implicit-def: $vgpr64_vgpr65
                                        ; implicit-def: $vgpr52_vgpr53
                                        ; implicit-def: $vgpr48_vgpr49
                                        ; implicit-def: $vgpr44_vgpr45
                                        ; implicit-def: $vgpr28_vgpr29
                                        ; implicit-def: $vgpr24_vgpr25
                                        ; implicit-def: $vgpr20_vgpr21
                                        ; implicit-def: $vgpr56_vgpr57
                                        ; implicit-def: $vgpr60_vgpr61
                                        ; implicit-def: $vgpr72_vgpr73
                                        ; implicit-def: $vgpr8_vgpr9
                                        ; implicit-def: $vgpr36_vgpr37
                                        ; implicit-def: $vgpr32_vgpr33
	s_and_saveexec_b64 s[6:7], s[0:1]
	s_cbranch_execz .LBB0_11
; %bb.10:
	s_add_u32 s0, s16, s14
	s_addc_u32 s1, s17, s15
	s_load_dwordx2 s[0:1], s[0:1], 0x0
	v_mov_b32_e32 v6, s9
	v_mov_b32_e32 v102, 0
	v_or_b32_e32 v12, 0x140, v101
	v_mov_b32_e32 v13, v102
	s_waitcnt lgkmcnt(0)
	v_mul_lo_u32 v2, s1, v98
	v_mul_lo_u32 v3, s0, v99
	v_mad_u64_u32 v[0:1], s[0:1], s0, v98, 0
	v_lshlrev_b64 v[12:13], 4, v[12:13]
	v_or_b32_e32 v20, 0x280, v101
	v_add3_u32 v1, v1, v3, v2
	v_lshlrev_b64 v[0:1], 4, v[0:1]
	v_mov_b32_e32 v21, v102
	v_add_co_u32_e64 v2, s[0:1], s8, v0
	v_addc_co_u32_e64 v3, s[0:1], v6, v1, s[0:1]
	v_lshlrev_b64 v[0:1], 4, v[4:5]
	v_lshlrev_b64 v[20:21], 4, v[20:21]
	v_add_co_u32_e64 v22, s[0:1], v2, v0
	v_addc_co_u32_e64 v23, s[0:1], v3, v1, s[0:1]
	v_lshlrev_b64 v[0:1], 4, v[101:102]
	v_add_co_u32_e64 v4, s[0:1], v22, v0
	v_addc_co_u32_e64 v5, s[0:1], v23, v1, s[0:1]
	s_movk_i32 s0, 0x1000
	v_add_co_u32_e64 v6, s[0:1], s0, v4
	v_addc_co_u32_e64 v7, s[0:1], 0, v5, s[0:1]
	v_add_co_u32_e64 v12, s[0:1], v22, v12
	v_addc_co_u32_e64 v13, s[0:1], v23, v13, s[0:1]
	s_movk_i32 s0, 0x2000
	v_add_co_u32_e64 v14, s[0:1], s0, v4
	v_addc_co_u32_e64 v15, s[0:1], 0, v5, s[0:1]
	v_add_co_u32_e64 v77, s[0:1], v22, v20
	global_load_dwordx4 v[0:3], v[4:5], off
	global_load_dwordx4 v[32:35], v[4:5], off offset:640
	global_load_dwordx4 v[36:39], v[4:5], off offset:1280
	;; [unrolled: 1-line block ×5, first 2 shown]
	v_addc_co_u32_e64 v78, s[0:1], v23, v21, s[0:1]
	global_load_dwordx4 v[72:75], v[4:5], off offset:3840
	global_load_dwordx4 v[68:71], v[6:7], off offset:384
	;; [unrolled: 1-line block ×6, first 2 shown]
	global_load_dwordx4 v[64:67], v[12:13], off
	global_load_dwordx4 v[44:47], v[14:15], off offset:128
	global_load_dwordx4 v[28:31], v[14:15], off offset:768
	;; [unrolled: 1-line block ×3, first 2 shown]
	global_load_dwordx4 v[20:23], v[77:78], off
.LBB0_11:
	s_or_b64 exec, exec, s[6:7]
	v_mov_b32_e32 v100, v101
.LBB0_12:
	s_or_b64 exec, exec, s[2:3]
	s_waitcnt vmcnt(0)
	v_add_f64 v[77:78], v[32:33], v[20:21]
	s_mov_b32 s0, 0x6ed5f1bb
	s_mov_b32 s1, 0xbfe348c8
	v_add_f64 v[79:80], v[34:35], -v[22:23]
	v_add_f64 v[81:82], v[36:37], v[24:25]
	s_mov_b32 s14, 0x6c9a05f6
	s_mov_b32 s8, 0xc61f0d01
	;; [unrolled: 1-line block ×3, first 2 shown]
	v_mul_f64 v[116:117], v[77:78], s[0:1]
	s_mov_b32 s15, 0xbfe9895b
	s_mov_b32 s9, 0xbfd183b1
	;; [unrolled: 1-line block ×3, first 2 shown]
	v_add_f64 v[83:84], v[38:39], -v[26:27]
	v_mul_f64 v[118:119], v[81:82], s[8:9]
	v_mul_f64 v[120:121], v[77:78], s[6:7]
	s_mov_b32 s22, 0x923c349f
	v_fma_f64 v[4:5], v[79:80], s[14:15], v[116:117]
	s_mov_b32 s18, 0x4363dd80
	s_mov_b32 s16, 0x2b2883cd
	;; [unrolled: 1-line block ×5, first 2 shown]
	v_fma_f64 v[6:7], v[83:84], s[22:23], v[118:119]
	v_fma_f64 v[12:13], v[79:80], s[18:19], v[120:121]
	v_add_f64 v[4:5], v[4:5], v[0:1]
	v_add_f64 v[85:86], v[28:29], v[40:41]
	v_mul_f64 v[124:125], v[81:82], s[16:17]
	s_mov_b32 s26, 0x7c9e640b
	s_mov_b32 s24, 0x3259b75e
	;; [unrolled: 1-line block ×4, first 2 shown]
	v_add_f64 v[12:13], v[12:13], v[0:1]
	v_add_f64 v[4:5], v[6:7], v[4:5]
	v_add_f64 v[87:88], v[42:43], -v[30:31]
	v_fma_f64 v[6:7], v[83:84], s[26:27], v[124:125]
	v_add_f64 v[89:90], v[44:45], v[16:17]
	v_mul_f64 v[130:131], v[85:86], s[24:25]
	s_mov_b32 s20, 0x370991
	s_mov_b32 s28, 0xeb564b22
	;; [unrolled: 1-line block ×4, first 2 shown]
	v_mul_f64 v[122:123], v[85:86], s[20:21]
	v_add_f64 v[91:92], v[18:19], -v[46:47]
	v_add_f64 v[6:7], v[6:7], v[12:13]
	v_fma_f64 v[12:13], v[87:88], s[28:29], v[130:131]
	v_mul_f64 v[128:129], v[89:90], s[0:1]
	s_mov_b32 s30, 0x5d8e7cdc
	s_mov_b32 s31, 0xbfd71e95
	;; [unrolled: 1-line block ×4, first 2 shown]
	v_fma_f64 v[14:15], v[87:88], s[30:31], v[122:123]
	v_mul_f64 v[126:127], v[89:90], s[6:7]
	v_add_f64 v[93:94], v[8:9], v[48:49]
	v_add_f64 v[6:7], v[12:13], v[6:7]
	v_fma_f64 v[12:13], v[91:92], s[54:55], v[128:129]
	s_mov_b32 s34, 0x7faef3
	s_mov_b32 s35, 0xbfef7484
	v_add_f64 v[102:103], v[10:11], -v[50:51]
	v_add_f64 v[4:5], v[14:15], v[4:5]
	v_fma_f64 v[14:15], v[91:92], s[18:19], v[126:127]
	v_mul_f64 v[132:133], v[93:94], s[24:25]
	v_mul_f64 v[134:135], v[93:94], s[20:21]
	v_add_f64 v[6:7], v[12:13], v[6:7]
	v_mul_f64 v[12:13], v[77:78], s[34:35]
	s_mov_b32 s56, 0xacd6c6b4
	s_mov_b32 s59, 0x3fefdd0d
	;; [unrolled: 1-line block ×6, first 2 shown]
	v_add_f64 v[4:5], v[14:15], v[4:5]
	v_fma_f64 v[14:15], v[102:103], s[58:59], v[132:133]
	v_fma_f64 v[104:105], v[102:103], s[30:31], v[134:135]
	;; [unrolled: 1-line block ×3, first 2 shown]
	v_mul_f64 v[108:109], v[81:82], s[20:21]
	v_fma_f64 v[12:13], v[79:80], s[36:37], v[12:13]
	s_mov_b32 s43, 0x3fd71e95
	s_mov_b32 s42, s30
	v_mul_f64 v[112:113], v[85:86], s[6:7]
	v_add_f64 v[4:5], v[14:15], v[4:5]
	v_add_f64 v[6:7], v[104:105], v[6:7]
	;; [unrolled: 1-line block ×3, first 2 shown]
	v_fma_f64 v[106:107], v[83:84], s[30:31], v[108:109]
	v_add_f64 v[12:13], v[12:13], v[0:1]
	v_fma_f64 v[110:111], v[83:84], s[42:43], v[108:109]
	v_add_f64 v[104:105], v[72:73], v[52:53]
	s_mov_b32 s40, 0x75d4884
	s_mov_b32 s41, 0x3fe7a5f6
	;; [unrolled: 1-line block ×4, first 2 shown]
	v_add_f64 v[108:109], v[74:75], -v[54:55]
	v_add_f64 v[14:15], v[106:107], v[14:15]
	v_add_f64 v[12:13], v[110:111], v[12:13]
	v_fma_f64 v[110:111], v[87:88], s[46:47], v[112:113]
	v_fma_f64 v[112:113], v[87:88], s[18:19], v[112:113]
	v_mul_f64 v[114:115], v[89:90], s[40:41]
	v_mul_f64 v[136:137], v[104:105], s[40:41]
	s_mov_b32 s44, 0x2a9d6da3
	s_mov_b32 s45, 0xbfe58eea
	;; [unrolled: 1-line block ×4, first 2 shown]
	v_add_f64 v[14:15], v[110:111], v[14:15]
	v_add_f64 v[12:13], v[112:113], v[12:13]
	v_fma_f64 v[110:111], v[91:92], s[44:45], v[114:115]
	v_fma_f64 v[114:115], v[91:92], s[52:53], v[114:115]
	v_mul_f64 v[144:145], v[93:94], s[0:1]
	v_fma_f64 v[146:147], v[108:109], s[44:45], v[136:137]
	v_mul_f64 v[138:139], v[104:105], s[34:35]
	v_add_f64 v[106:107], v[56:57], v[68:69]
	s_mov_b32 s51, 0xbfeca52d
	s_mov_b32 s50, s26
	v_add_f64 v[14:15], v[110:111], v[14:15]
	v_add_f64 v[12:13], v[114:115], v[12:13]
	v_fma_f64 v[114:115], v[102:103], s[54:55], v[144:145]
	v_fma_f64 v[144:145], v[102:103], s[14:15], v[144:145]
	v_add_f64 v[4:5], v[146:147], v[4:5]
	v_mul_f64 v[146:147], v[104:105], s[16:17]
	v_fma_f64 v[148:149], v[108:109], s[36:37], v[138:139]
	v_add_f64 v[112:113], v[70:71], -v[58:59]
	v_mul_f64 v[140:141], v[106:107], s[34:35]
	v_mul_f64 v[142:143], v[106:107], s[40:41]
	v_add_f64 v[110:111], v[60:61], v[64:65]
	v_add_f64 v[14:15], v[114:115], v[14:15]
	;; [unrolled: 1-line block ×3, first 2 shown]
	v_fma_f64 v[152:153], v[108:109], s[50:51], v[146:147]
	v_fma_f64 v[154:155], v[108:109], s[26:27], v[146:147]
	v_mul_f64 v[156:157], v[106:107], s[8:9]
	s_mov_b32 s49, 0xbfeec746
	s_mov_b32 s48, s22
	v_add_f64 v[6:7], v[148:149], v[6:7]
	v_fma_f64 v[148:149], v[112:113], s[36:37], v[140:141]
	v_fma_f64 v[150:151], v[112:113], s[52:53], v[142:143]
	v_add_f64 v[114:115], v[66:67], -v[62:63]
	v_mul_f64 v[144:145], v[110:111], s[16:17]
	v_mul_f64 v[146:147], v[110:111], s[8:9]
	v_add_f64 v[14:15], v[152:153], v[14:15]
	v_add_f64 v[12:13], v[154:155], v[12:13]
	v_fma_f64 v[152:153], v[112:113], s[22:23], v[156:157]
	v_fma_f64 v[154:155], v[112:113], s[48:49], v[156:157]
	v_mul_f64 v[156:157], v[110:111], s[24:25]
	v_add_f64 v[4:5], v[148:149], v[4:5]
	v_add_f64 v[148:149], v[150:151], v[6:7]
	v_fma_f64 v[6:7], v[114:115], s[26:27], v[144:145]
	v_fma_f64 v[150:151], v[114:115], s[48:49], v[146:147]
	s_mov_b32 s2, 0xaaaaaaab
	v_add_f64 v[14:15], v[152:153], v[14:15]
	v_add_f64 v[152:153], v[154:155], v[12:13]
	v_fma_f64 v[12:13], v[114:115], s[28:29], v[156:157]
	v_fma_f64 v[154:155], v[114:115], s[58:59], v[156:157]
	v_mul_hi_u32 v95, v76, s2
	v_add_f64 v[6:7], v[6:7], v[4:5]
	v_add_f64 v[4:5], v[150:151], v[148:149]
	v_cmp_gt_u32_e64 s[2:3], 40, v101
	v_lshrrev_b32_e32 v95, 1, v95
	v_lshl_add_u32 v95, v95, 1, v95
	v_add_f64 v[12:13], v[12:13], v[14:15]
	v_add_f64 v[14:15], v[154:155], v[152:153]
	v_sub_u32_e32 v76, v76, v95
	v_mul_u32_u24_e32 v76, 0x2a8, v76
	v_lshlrev_b32_e32 v148, 3, v76
	s_and_saveexec_b64 s[38:39], s[2:3]
	s_cbranch_execz .LBB0_14
; %bb.13:
	v_mul_f64 v[149:150], v[79:80], s[18:19]
	v_mul_f64 v[151:152], v[79:80], s[14:15]
	;; [unrolled: 1-line block ×8, first 2 shown]
	v_add_f64 v[120:121], v[120:121], -v[149:150]
	v_add_f64 v[116:117], v[116:117], -v[151:152]
	;; [unrolled: 1-line block ×4, first 2 shown]
	v_mul_f64 v[149:150], v[91:92], s[54:55]
	v_add_f64 v[130:131], v[130:131], -v[159:160]
	v_add_f64 v[122:123], v[122:123], -v[157:158]
	v_mul_f64 v[151:152], v[102:103], s[58:59]
	v_add_f64 v[120:121], v[120:121], v[0:1]
	v_add_f64 v[116:117], v[116:117], v[0:1]
	v_mul_f64 v[159:160], v[79:80], s[48:49]
	v_add_f64 v[126:127], v[126:127], -v[161:162]
	v_add_f64 v[128:129], v[128:129], -v[149:150]
	v_mul_f64 v[165:166], v[108:109], s[44:45]
	v_mul_f64 v[153:154], v[108:109], s[36:37]
	;; [unrolled: 1-line block ×3, first 2 shown]
	v_add_f64 v[120:121], v[124:125], v[120:121]
	v_add_f64 v[116:117], v[118:119], v[116:117]
	v_add_f64 v[134:135], v[134:135], -v[163:164]
	v_add_f64 v[132:133], v[132:133], -v[151:152]
	v_fma_f64 v[151:152], v[77:78], s[8:9], v[159:160]
	v_mul_f64 v[155:156], v[112:113], s[36:37]
	v_mul_f64 v[167:168], v[112:113], s[52:53]
	;; [unrolled: 1-line block ×3, first 2 shown]
	v_add_f64 v[120:121], v[130:131], v[120:121]
	v_add_f64 v[116:117], v[122:123], v[116:117]
	v_add_f64 v[138:139], v[138:139], -v[153:154]
	v_add_f64 v[136:137], v[136:137], -v[165:166]
	v_fma_f64 v[153:154], v[81:82], s[6:7], v[149:150]
	v_add_f64 v[151:152], v[151:152], v[0:1]
	v_mul_f64 v[169:170], v[114:115], s[26:27]
	v_mul_f64 v[130:131], v[91:92], s[50:51]
	v_add_f64 v[120:121], v[128:129], v[120:121]
	v_add_f64 v[116:117], v[126:127], v[116:117]
	v_mul_f64 v[126:127], v[87:88], s[52:53]
	v_add_f64 v[142:143], v[142:143], -v[167:168]
	v_add_f64 v[140:141], v[140:141], -v[155:156]
	v_add_f64 v[151:152], v[153:154], v[151:152]
	v_add_f64 v[118:119], v[146:147], -v[118:119]
	v_fma_f64 v[146:147], v[77:78], s[8:9], -v[159:160]
	v_add_f64 v[120:121], v[134:135], v[120:121]
	v_add_f64 v[116:117], v[132:133], v[116:117]
	v_mul_f64 v[134:135], v[79:80], s[28:29]
	v_fma_f64 v[155:156], v[85:86], s[40:41], v[126:127]
	v_mul_f64 v[122:123], v[102:103], s[36:37]
	v_mul_f64 v[132:133], v[83:84], s[36:37]
	v_fma_f64 v[149:150], v[81:82], s[6:7], -v[149:150]
	v_add_f64 v[146:147], v[146:147], v[0:1]
	v_add_f64 v[120:121], v[138:139], v[120:121]
	;; [unrolled: 1-line block ×3, first 2 shown]
	v_add_f64 v[136:137], v[144:145], -v[169:170]
	v_fma_f64 v[144:145], v[89:90], s[16:17], v[130:131]
	v_add_f64 v[151:152], v[155:156], v[151:152]
	v_mul_f64 v[157:158], v[108:109], s[58:59]
	v_mul_f64 v[128:129], v[87:88], s[22:23]
	v_fma_f64 v[153:154], v[81:82], s[34:35], v[132:133]
	v_add_f64 v[120:121], v[142:143], v[120:121]
	v_add_f64 v[116:117], v[140:141], v[116:117]
	v_fma_f64 v[140:141], v[77:78], s[24:25], v[134:135]
	v_fma_f64 v[142:143], v[93:94], s[34:35], v[122:123]
	v_add_f64 v[144:145], v[144:145], v[151:152]
	v_fma_f64 v[126:127], v[85:86], s[40:41], -v[126:127]
	v_add_f64 v[146:147], v[149:150], v[146:147]
	v_fma_f64 v[149:150], v[85:86], s[8:9], v[128:129]
	v_add_f64 v[118:119], v[118:119], v[120:121]
	v_add_f64 v[116:117], v[136:137], v[116:117]
	v_add_f64 v[120:121], v[140:141], v[0:1]
	v_mul_f64 v[136:137], v[112:113], s[30:31]
	v_fma_f64 v[140:141], v[104:105], s[24:25], v[157:158]
	v_add_f64 v[142:143], v[142:143], v[144:145]
	v_mul_f64 v[144:145], v[91:92], s[42:43]
	v_fma_f64 v[134:135], v[77:78], s[24:25], -v[134:135]
	v_fma_f64 v[130:131], v[89:90], s[16:17], -v[130:131]
	v_add_f64 v[126:127], v[126:127], v[146:147]
	v_add_f64 v[120:121], v[153:154], v[120:121]
	v_mul_f64 v[124:125], v[114:115], s[14:15]
	v_fma_f64 v[151:152], v[106:107], s[20:21], v[136:137]
	v_add_f64 v[140:141], v[140:141], v[142:143]
	v_mul_f64 v[142:143], v[102:103], s[50:51]
	v_fma_f64 v[146:147], v[89:90], s[20:21], v[144:145]
	v_fma_f64 v[132:133], v[81:82], s[34:35], -v[132:133]
	v_add_f64 v[134:135], v[134:135], v[0:1]
	v_add_f64 v[120:121], v[149:150], v[120:121]
	v_fma_f64 v[122:123], v[93:94], s[34:35], -v[122:123]
	v_add_f64 v[126:127], v[130:131], v[126:127]
	v_fma_f64 v[138:139], v[110:111], s[0:1], v[124:125]
	v_add_f64 v[130:131], v[151:152], v[140:141]
	v_mul_f64 v[140:141], v[108:109], s[18:19]
	v_fma_f64 v[149:150], v[93:94], s[16:17], v[142:143]
	v_fma_f64 v[128:129], v[85:86], s[8:9], -v[128:129]
	v_add_f64 v[120:121], v[146:147], v[120:121]
	v_add_f64 v[132:133], v[132:133], v[134:135]
	v_fma_f64 v[134:135], v[104:105], s[24:25], -v[157:158]
	v_add_f64 v[122:123], v[122:123], v[126:127]
	v_add_f64 v[126:127], v[138:139], v[130:131]
	v_mul_f64 v[130:131], v[112:113], s[54:55]
	v_fma_f64 v[138:139], v[104:105], s[6:7], v[140:141]
	v_fma_f64 v[144:145], v[89:90], s[20:21], -v[144:145]
	v_add_f64 v[120:121], v[149:150], v[120:121]
	v_add_f64 v[128:129], v[128:129], v[132:133]
	v_fma_f64 v[132:133], v[106:107], s[20:21], -v[136:137]
	v_add_f64 v[122:123], v[134:135], v[122:123]
	v_mul_f64 v[134:135], v[79:80], s[50:51]
	v_fma_f64 v[146:147], v[106:107], s[0:1], v[130:131]
	v_fma_f64 v[124:125], v[110:111], s[0:1], -v[124:125]
	v_mul_f64 v[136:137], v[114:115], s[52:53]
	v_add_f64 v[120:121], v[138:139], v[120:121]
	v_fma_f64 v[138:139], v[93:94], s[16:17], -v[142:143]
	v_add_f64 v[128:129], v[144:145], v[128:129]
	v_mul_f64 v[142:143], v[83:84], s[14:15]
	v_fma_f64 v[144:145], v[77:78], s[16:17], v[134:135]
	v_add_f64 v[122:123], v[132:133], v[122:123]
	v_fma_f64 v[140:141], v[104:105], s[6:7], -v[140:141]
	v_fma_f64 v[132:133], v[110:111], s[40:41], v[136:137]
	v_add_f64 v[120:121], v[146:147], v[120:121]
	v_fma_f64 v[130:131], v[106:107], s[0:1], -v[130:131]
	v_add_f64 v[128:129], v[138:139], v[128:129]
	v_fma_f64 v[146:147], v[81:82], s[0:1], v[142:143]
	v_add_f64 v[144:145], v[144:145], v[0:1]
	v_add_f64 v[122:123], v[124:125], v[122:123]
	v_fma_f64 v[124:125], v[77:78], s[16:17], -v[134:135]
	v_mul_f64 v[138:139], v[87:88], s[56:57]
	v_fma_f64 v[142:143], v[81:82], s[0:1], -v[142:143]
	v_add_f64 v[120:121], v[132:133], v[120:121]
	v_add_f64 v[128:129], v[140:141], v[128:129]
	v_mul_f64 v[132:133], v[91:92], s[22:23]
	v_add_f64 v[140:141], v[146:147], v[144:145]
	v_add_f64 v[144:145], v[32:33], v[0:1]
	;; [unrolled: 1-line block ×3, first 2 shown]
	v_fma_f64 v[134:135], v[85:86], s[34:35], v[138:139]
	v_fma_f64 v[138:139], v[85:86], s[34:35], -v[138:139]
	v_mul_f64 v[149:150], v[79:80], s[44:45]
	v_add_f64 v[128:129], v[130:131], v[128:129]
	v_mul_f64 v[130:131], v[102:103], s[52:53]
	v_fma_f64 v[146:147], v[89:90], s[8:9], v[132:133]
	v_fma_f64 v[132:133], v[89:90], s[8:9], -v[132:133]
	v_add_f64 v[124:125], v[142:143], v[124:125]
	v_add_f64 v[142:143], v[36:37], v[144:145]
	;; [unrolled: 1-line block ×3, first 2 shown]
	v_mul_f64 v[144:145], v[108:109], s[30:31]
	v_fma_f64 v[153:154], v[77:78], s[40:41], v[149:150]
	v_fma_f64 v[151:152], v[93:94], s[40:41], v[130:131]
	v_fma_f64 v[130:131], v[93:94], s[40:41], -v[130:131]
	v_mul_f64 v[79:80], v[79:80], s[30:31]
	v_add_f64 v[124:125], v[138:139], v[124:125]
	v_add_f64 v[142:143], v[40:41], v[142:143]
	;; [unrolled: 1-line block ×3, first 2 shown]
	v_mul_f64 v[146:147], v[83:84], s[28:29]
	v_mul_f64 v[138:139], v[112:113], s[28:29]
	v_fma_f64 v[155:156], v[104:105], s[20:21], v[144:145]
	v_add_f64 v[153:154], v[153:154], v[0:1]
	v_fma_f64 v[144:145], v[104:105], s[20:21], -v[144:145]
	v_add_f64 v[124:125], v[132:133], v[124:125]
	v_add_f64 v[142:143], v[16:17], v[142:143]
	;; [unrolled: 1-line block ×3, first 2 shown]
	v_mul_f64 v[132:133], v[87:88], s[14:15]
	v_fma_f64 v[151:152], v[81:82], s[24:25], v[146:147]
	v_fma_f64 v[157:158], v[106:107], s[24:25], v[138:139]
	v_fma_f64 v[138:139], v[106:107], s[24:25], -v[138:139]
	v_mul_f64 v[83:84], v[83:84], s[44:45]
	v_add_f64 v[124:125], v[130:131], v[124:125]
	v_add_f64 v[142:143], v[8:9], v[142:143]
	;; [unrolled: 1-line block ×3, first 2 shown]
	v_mul_f64 v[130:131], v[91:92], s[36:37]
	v_fma_f64 v[155:156], v[85:86], s[0:1], v[132:133]
	v_add_f64 v[151:152], v[151:152], v[153:154]
	v_fma_f64 v[165:166], v[77:78], s[20:21], -v[79:80]
	v_fma_f64 v[149:150], v[77:78], s[40:41], -v[149:150]
	v_add_f64 v[124:125], v[144:145], v[124:125]
	v_add_f64 v[142:143], v[72:73], v[142:143]
	;; [unrolled: 1-line block ×3, first 2 shown]
	v_mul_f64 v[144:145], v[102:103], s[46:47]
	v_fma_f64 v[157:158], v[89:90], s[34:35], v[130:131]
	v_add_f64 v[151:152], v[155:156], v[151:152]
	v_mul_f64 v[87:88], v[87:88], s[50:51]
	v_fma_f64 v[76:77], v[77:78], s[20:21], v[79:80]
	v_add_f64 v[124:125], v[138:139], v[124:125]
	v_add_f64 v[138:139], v[68:69], v[142:143]
	v_fma_f64 v[78:79], v[81:82], s[40:41], -v[83:84]
	v_fma_f64 v[142:143], v[93:94], s[6:7], v[144:145]
	v_fma_f64 v[146:147], v[81:82], s[24:25], -v[146:147]
	v_add_f64 v[151:152], v[157:158], v[151:152]
	v_add_f64 v[149:150], v[149:150], v[0:1]
	v_mul_f64 v[91:92], v[91:92], s[28:29]
	v_fma_f64 v[80:81], v[81:82], s[40:41], v[83:84]
	v_add_f64 v[138:139], v[64:65], v[138:139]
	v_fma_f64 v[132:133], v[85:86], s[0:1], -v[132:133]
	v_mul_f64 v[102:103], v[102:103], s[48:49]
	v_fma_f64 v[130:131], v[89:90], s[34:35], -v[130:131]
	v_add_f64 v[142:143], v[142:143], v[151:152]
	v_add_f64 v[151:152], v[165:166], v[0:1]
	;; [unrolled: 1-line block ×3, first 2 shown]
	v_fma_f64 v[76:77], v[85:86], s[16:17], -v[87:88]
	v_add_f64 v[138:139], v[60:61], v[138:139]
	v_fma_f64 v[84:85], v[85:86], s[16:17], v[87:88]
	v_mul_f64 v[159:160], v[108:109], s[22:23]
	v_mul_f64 v[108:109], v[108:109], s[14:15]
	v_fma_f64 v[86:87], v[93:94], s[6:7], -v[144:145]
	v_add_f64 v[78:79], v[78:79], v[151:152]
	v_add_f64 v[0:1], v[80:81], v[0:1]
	v_fma_f64 v[80:81], v[89:90], s[24:25], -v[91:92]
	v_add_f64 v[82:83], v[56:57], v[138:139]
	v_add_f64 v[138:139], v[146:147], v[149:150]
	v_fma_f64 v[88:89], v[89:90], s[24:25], v[91:92]
	v_mul_f64 v[90:91], v[112:113], s[18:19]
	v_mul_f64 v[155:156], v[112:113], s[26:27]
	v_add_f64 v[76:77], v[76:77], v[78:79]
	v_add_f64 v[0:1], v[84:85], v[0:1]
	v_fma_f64 v[84:85], v[93:94], s[8:9], -v[102:103]
	v_add_f64 v[78:79], v[52:53], v[82:83]
	v_add_f64 v[82:83], v[132:133], v[138:139]
	v_fma_f64 v[92:93], v[93:94], s[8:9], v[102:103]
	v_fma_f64 v[163:164], v[104:105], s[8:9], v[159:160]
	;; [unrolled: 1-line block ×3, first 2 shown]
	v_add_f64 v[76:77], v[80:81], v[76:77]
	v_add_f64 v[0:1], v[88:89], v[0:1]
	v_fma_f64 v[88:89], v[104:105], s[0:1], -v[108:109]
	v_add_f64 v[78:79], v[48:49], v[78:79]
	v_add_f64 v[80:81], v[130:131], v[82:83]
	v_fma_f64 v[82:83], v[104:105], s[8:9], -v[159:160]
	v_mul_f64 v[140:141], v[114:115], s[18:19]
	v_mul_f64 v[157:158], v[114:115], s[42:43]
	v_add_f64 v[76:77], v[84:85], v[76:77]
	v_add_f64 v[0:1], v[92:93], v[0:1]
	v_fma_f64 v[92:93], v[106:107], s[6:7], -v[90:91]
	v_add_f64 v[78:79], v[44:45], v[78:79]
	v_add_f64 v[80:81], v[86:87], v[80:81]
	v_mul_f64 v[86:87], v[114:115], s[36:37]
	v_fma_f64 v[84:85], v[106:107], s[16:17], -v[155:156]
	v_fma_f64 v[161:162], v[106:107], s[16:17], v[155:156]
	v_add_f64 v[76:77], v[88:89], v[76:77]
	v_fma_f64 v[90:91], v[106:107], s[6:7], v[90:91]
	v_add_f64 v[0:1], v[94:95], v[0:1]
	v_add_f64 v[78:79], v[28:29], v[78:79]
	;; [unrolled: 1-line block ×4, first 2 shown]
	v_fma_f64 v[94:95], v[110:111], s[34:35], -v[86:87]
	v_fma_f64 v[153:154], v[110:111], s[6:7], v[140:141]
	v_add_f64 v[76:77], v[92:93], v[76:77]
	v_fma_f64 v[140:141], v[110:111], s[6:7], -v[140:141]
	v_fma_f64 v[88:89], v[110:111], s[20:21], -v[157:158]
	v_add_f64 v[78:79], v[24:25], v[78:79]
	v_add_f64 v[80:81], v[84:85], v[80:81]
	v_fma_f64 v[136:137], v[110:111], s[40:41], -v[136:137]
	v_fma_f64 v[84:85], v[110:111], s[20:21], v[157:158]
	v_add_f64 v[82:83], v[161:162], v[82:83]
	v_fma_f64 v[86:87], v[110:111], s[34:35], v[86:87]
	v_add_f64 v[0:1], v[90:91], v[0:1]
	v_add_f64 v[76:77], v[94:95], v[76:77]
	;; [unrolled: 1-line block ×7, first 2 shown]
	v_mul_u32_u24_e32 v84, 0x88, v101
	v_add_f64 v[92:93], v[153:154], v[134:135]
	v_add3_u32 v84, 0, v84, v148
	v_add_f64 v[0:1], v[86:87], v[0:1]
	ds_write2_b64 v84, v[78:79], v[76:77] offset1:1
	ds_write2_b64 v84, v[80:81], v[90:91] offset0:2 offset1:3
	ds_write2_b64 v84, v[88:89], v[122:123] offset0:4 offset1:5
	;; [unrolled: 1-line block ×7, first 2 shown]
	ds_write_b64 v84, v[0:1] offset:128
.LBB0_14:
	s_or_b64 exec, exec, s[38:39]
	v_lshlrev_b32_e32 v0, 3, v101
	v_add_u32_e32 v149, 0, v0
	v_add_u32_e32 v146, v149, v148
	v_add3_u32 v147, 0, v148, v0
	v_add_u32_e32 v0, 0x400, v146
	v_add_u32_e32 v1, 0x800, v146
	s_waitcnt lgkmcnt(0)
	s_barrier
	ds_read2_b64 v[84:87], v146 offset0:68 offset1:170
	ds_read2_b64 v[76:79], v0 offset0:110 offset1:212
	;; [unrolled: 1-line block ×3, first 2 shown]
	ds_read_b64 v[102:103], v147
	ds_read_b64 v[104:105], v146 offset:4624
	v_cmp_gt_u32_e64 s[0:1], 34, v101
	s_and_saveexec_b64 s[6:7], s[0:1]
	s_cbranch_execz .LBB0_16
; %bb.15:
	ds_read2_b64 v[12:15], v0 offset0:8 offset1:178
	v_add_u32_e32 v0, 0xe00, v146
	ds_read2_b64 v[4:7], v0 offset0:28 offset1:198
.LBB0_16:
	s_or_b64 exec, exec, s[6:7]
	v_add_f64 v[108:109], v[32:33], -v[20:21]
	s_mov_b32 s6, 0x6c9a05f6
	s_mov_b32 s16, 0x4363dd80
	;; [unrolled: 1-line block ×4, first 2 shown]
	v_add_f64 v[106:107], v[34:35], v[22:23]
	v_add_f64 v[134:135], v[36:37], -v[24:25]
	s_mov_b32 s8, 0x6ed5f1bb
	v_mul_f64 v[112:113], v[108:109], s[6:7]
	v_mul_f64 v[118:119], v[108:109], s[16:17]
	s_mov_b32 s14, 0x910ea3b9
	s_mov_b32 s38, 0x923c349f
	s_mov_b32 s28, 0x7c9e640b
	s_mov_b32 s9, 0xbfe348c8
	s_mov_b32 s15, 0xbfeb34fa
	s_mov_b32 s39, 0x3feec746
	s_mov_b32 s29, 0x3feca52d
	v_fma_f64 v[20:21], v[106:107], s[8:9], -v[112:113]
	v_fma_f64 v[32:33], v[106:107], s[14:15], -v[118:119]
	v_add_f64 v[120:121], v[38:39], v[26:27]
	v_mul_f64 v[132:133], v[134:135], s[38:39]
	v_mul_f64 v[136:137], v[134:135], s[28:29]
	v_add_f64 v[144:145], v[40:41], -v[28:29]
	s_mov_b32 s20, 0xacd6c6b4
	s_mov_b32 s44, 0xc61f0d01
	;; [unrolled: 1-line block ×10, first 2 shown]
	v_mul_f64 v[0:1], v[108:109], s[20:21]
	v_add_f64 v[20:21], v[20:21], v[2:3]
	v_add_f64 v[32:33], v[32:33], v[2:3]
	v_fma_f64 v[36:37], v[120:121], s[44:45], -v[132:133]
	v_fma_f64 v[28:29], v[120:121], s[26:27], -v[136:137]
	v_add_f64 v[138:139], v[30:31], v[42:43]
	v_mul_f64 v[140:141], v[144:145], s[36:37]
	s_mov_b32 s18, 0x7faef3
	s_mov_b32 s22, 0x370991
	;; [unrolled: 1-line block ×6, first 2 shown]
	v_fma_f64 v[24:25], v[106:107], s[18:19], v[0:1]
	v_fma_f64 v[0:1], v[106:107], s[18:19], -v[0:1]
	v_mul_f64 v[40:41], v[134:135], s[24:25]
	v_add_f64 v[20:21], v[36:37], v[20:21]
	v_add_f64 v[28:29], v[28:29], v[32:33]
	v_fma_f64 v[32:33], v[138:139], s[22:23], -v[140:141]
	v_mul_f64 v[142:143], v[144:145], s[42:43]
	s_mov_b32 s46, 0x3259b75e
	s_mov_b32 s47, 0x3fb79ee6
	v_add_f64 v[24:25], v[24:25], v[2:3]
	v_add_f64 v[0:1], v[0:1], v[2:3]
	v_fma_f64 v[36:37], v[120:121], s[22:23], v[40:41]
	v_fma_f64 v[40:41], v[120:121], s[22:23], -v[40:41]
	v_mul_f64 v[88:89], v[144:145], s[16:17]
	v_add_f64 v[130:131], v[16:17], -v[44:45]
	v_add_f64 v[16:17], v[32:33], v[20:21]
	v_fma_f64 v[20:21], v[138:139], s[46:47], -v[142:143]
	s_mov_b32 s34, 0x2a9d6da3
	s_mov_b32 s49, 0x3fe9895b
	;; [unrolled: 1-line block ×4, first 2 shown]
	v_add_f64 v[24:25], v[36:37], v[24:25]
	v_add_f64 v[0:1], v[40:41], v[0:1]
	v_fma_f64 v[36:37], v[138:139], s[14:15], -v[88:89]
	v_add_f64 v[128:129], v[46:47], v[18:19]
	v_mul_f64 v[126:127], v[130:131], s[48:49]
	v_add_f64 v[20:21], v[20:21], v[28:29]
	v_mul_f64 v[28:29], v[130:131], s[34:35]
	v_add_f64 v[122:123], v[8:9], -v[48:49]
	s_mov_b32 s30, 0x75d4884
	s_mov_b32 s31, 0x3fe7a5f6
	v_fma_f64 v[32:33], v[138:139], s[14:15], v[88:89]
	v_mul_f64 v[124:125], v[130:131], s[16:17]
	v_add_f64 v[0:1], v[36:37], v[0:1]
	v_fma_f64 v[36:37], v[128:129], s[8:9], -v[126:127]
	v_fma_f64 v[8:9], v[128:129], s[30:31], v[28:29]
	v_fma_f64 v[28:29], v[128:129], s[30:31], -v[28:29]
	v_add_f64 v[116:117], v[10:11], v[50:51]
	v_mul_f64 v[114:115], v[122:123], s[36:37]
	v_add_f64 v[52:53], v[72:73], -v[52:53]
	s_mov_b32 s51, 0x3fefdd0d
	s_mov_b32 s50, s42
	v_add_f64 v[24:25], v[32:33], v[24:25]
	v_fma_f64 v[32:33], v[128:129], s[14:15], -v[124:125]
	v_mul_f64 v[110:111], v[122:123], s[50:51]
	v_mul_f64 v[40:41], v[122:123], s[6:7]
	v_add_f64 v[20:21], v[36:37], v[20:21]
	v_add_f64 v[0:1], v[28:29], v[0:1]
	v_fma_f64 v[28:29], v[116:117], s[22:23], -v[114:115]
	v_add_f64 v[48:49], v[74:75], v[54:55]
	v_mul_f64 v[44:45], v[52:53], s[20:21]
	s_mov_b32 s55, 0xbfe58eea
	s_mov_b32 s54, s34
	v_add_f64 v[16:17], v[32:33], v[16:17]
	v_add_f64 v[8:9], v[8:9], v[24:25]
	v_fma_f64 v[24:25], v[116:117], s[46:47], -v[110:111]
	v_fma_f64 v[32:33], v[116:117], s[8:9], v[40:41]
	v_fma_f64 v[72:73], v[116:117], s[8:9], -v[40:41]
	v_mul_f64 v[40:41], v[52:53], s[54:55]
	v_mul_f64 v[88:89], v[52:53], s[28:29]
	v_add_f64 v[20:21], v[28:29], v[20:21]
	v_add_f64 v[36:37], v[68:69], -v[56:57]
	v_fma_f64 v[68:69], v[48:49], s[18:19], -v[44:45]
	s_mov_b32 s53, 0xbfeec746
	s_mov_b32 s52, s38
	v_add_f64 v[16:17], v[24:25], v[16:17]
	v_add_f64 v[8:9], v[32:33], v[8:9]
	;; [unrolled: 1-line block ×3, first 2 shown]
	v_fma_f64 v[56:57], v[48:49], s[30:31], -v[40:41]
	v_fma_f64 v[72:73], v[48:49], s[26:27], v[88:89]
	v_fma_f64 v[88:89], v[48:49], s[26:27], -v[88:89]
	v_add_f64 v[32:33], v[58:59], v[70:71]
	v_mul_f64 v[28:29], v[36:37], s[20:21]
	v_mul_f64 v[24:25], v[36:37], s[34:35]
	;; [unrolled: 1-line block ×3, first 2 shown]
	v_add_f64 v[68:69], v[68:69], v[20:21]
	v_add_f64 v[20:21], v[64:65], -v[60:61]
	v_add_f64 v[56:57], v[56:57], v[16:17]
	v_add_f64 v[60:61], v[72:73], v[8:9]
	;; [unrolled: 1-line block ×3, first 2 shown]
	v_fma_f64 v[72:73], v[32:33], s[18:19], -v[28:29]
	v_fma_f64 v[88:89], v[32:33], s[30:31], -v[24:25]
	v_fma_f64 v[92:93], v[32:33], s[44:45], v[90:91]
	v_fma_f64 v[90:91], v[32:33], s[44:45], -v[90:91]
	v_add_f64 v[0:1], v[62:63], v[66:67]
	v_mul_f64 v[16:17], v[20:21], s[28:29]
	v_mul_f64 v[8:9], v[20:21], s[52:53]
	;; [unrolled: 1-line block ×3, first 2 shown]
	v_add_f64 v[56:57], v[72:73], v[56:57]
	v_add_f64 v[68:69], v[88:89], v[68:69]
	;; [unrolled: 1-line block ×4, first 2 shown]
	s_waitcnt lgkmcnt(0)
	v_fma_f64 v[72:73], v[0:1], s[26:27], -v[16:17]
	v_fma_f64 v[88:89], v[0:1], s[44:45], -v[8:9]
	v_fma_f64 v[90:91], v[0:1], s[46:47], v[94:95]
	v_fma_f64 v[150:151], v[0:1], s[46:47], -v[94:95]
	s_barrier
	v_add_f64 v[94:95], v[72:73], v[56:57]
	v_add_f64 v[92:93], v[88:89], v[68:69]
	;; [unrolled: 1-line block ×4, first 2 shown]
	s_and_saveexec_b64 s[40:41], s[2:3]
	s_cbranch_execz .LBB0_18
; %bb.17:
	v_add_f64 v[34:35], v[34:35], v[2:3]
	v_mul_f64 v[168:169], v[108:109], s[36:37]
	v_mul_f64 v[170:171], v[108:109], s[54:55]
	s_mov_b32 s3, 0xbfeca52d
	s_mov_b32 s2, s28
	v_mul_f64 v[174:175], v[134:135], s[54:55]
	s_mov_b32 s55, 0x3fe0d888
	s_mov_b32 s54, s16
	v_add_f64 v[34:35], v[38:39], v[34:35]
	s_mov_b32 s57, 0x3fc7851a
	s_mov_b32 s56, s20
	v_mul_f64 v[56:57], v[106:107], s[8:9]
	v_mul_f64 v[60:61], v[106:107], s[14:15]
	;; [unrolled: 1-line block ×5, first 2 shown]
	v_add_f64 v[34:35], v[42:43], v[34:35]
	v_mul_f64 v[150:151], v[138:139], s[46:47]
	v_mul_f64 v[172:173], v[108:109], s[42:43]
	;; [unrolled: 1-line block ×7, first 2 shown]
	v_add_f64 v[18:19], v[18:19], v[34:35]
	v_mul_f64 v[34:35], v[108:109], s[52:53]
	v_mul_f64 v[108:109], v[108:109], s[2:3]
	v_fma_f64 v[188:189], v[106:107], s[22:23], v[168:169]
	v_fma_f64 v[168:169], v[106:107], s[22:23], -v[168:169]
	v_fma_f64 v[190:191], v[106:107], s[30:31], v[170:171]
	v_fma_f64 v[170:171], v[106:107], s[30:31], -v[170:171]
	v_add_f64 v[56:57], v[56:57], v[112:113]
	v_add_f64 v[10:11], v[10:11], v[18:19]
	v_mul_f64 v[18:19], v[144:145], s[6:7]
	v_fma_f64 v[192:193], v[106:107], s[44:45], v[34:35]
	v_fma_f64 v[34:35], v[106:107], s[44:45], -v[34:35]
	v_add_f64 v[60:61], v[60:61], v[118:119]
	v_fma_f64 v[112:113], v[120:121], s[30:31], v[174:175]
	v_fma_f64 v[118:119], v[120:121], s[46:47], v[176:177]
	;; [unrolled: 1-line block ×3, first 2 shown]
	v_add_f64 v[10:11], v[74:75], v[10:11]
	v_mul_f64 v[74:75], v[134:135], s[54:55]
	v_mul_f64 v[134:135], v[144:145], s[2:3]
	;; [unrolled: 1-line block ×3, first 2 shown]
	v_fma_f64 v[180:181], v[120:121], s[18:19], -v[180:181]
	v_add_f64 v[72:73], v[72:73], v[140:141]
	v_add_f64 v[140:141], v[150:151], v[142:143]
	v_fma_f64 v[142:143], v[106:107], s[26:27], v[108:109]
	v_add_f64 v[10:11], v[70:71], v[10:11]
	v_fma_f64 v[70:71], v[106:107], s[46:47], v[172:173]
	v_fma_f64 v[172:173], v[106:107], s[46:47], -v[172:173]
	v_fma_f64 v[106:107], v[106:107], s[26:27], -v[108:109]
	v_fma_f64 v[108:109], v[120:121], s[14:15], v[74:75]
	v_fma_f64 v[74:75], v[120:121], s[14:15], -v[74:75]
	v_add_f64 v[150:151], v[168:169], v[2:3]
	v_add_f64 v[34:35], v[34:35], v[2:3]
	;; [unrolled: 1-line block ×3, first 2 shown]
	v_fma_f64 v[66:67], v[120:121], s[30:31], -v[174:175]
	v_fma_f64 v[174:175], v[120:121], s[46:47], -v[176:177]
	v_fma_f64 v[176:177], v[120:121], s[8:9], v[178:179]
	v_fma_f64 v[178:179], v[120:121], s[8:9], -v[178:179]
	v_fma_f64 v[120:121], v[138:139], s[26:27], -v[134:135]
	v_mul_f64 v[186:187], v[130:131], s[42:43]
	v_add_f64 v[168:169], v[190:191], v[2:3]
	v_add_f64 v[10:11], v[62:63], v[10:11]
	;; [unrolled: 1-line block ×4, first 2 shown]
	v_fma_f64 v[68:69], v[138:139], s[8:9], v[18:19]
	v_fma_f64 v[18:19], v[138:139], s[8:9], -v[18:19]
	v_fma_f64 v[132:133], v[138:139], s[44:45], v[182:183]
	v_fma_f64 v[136:137], v[138:139], s[44:45], -v[182:183]
	v_fma_f64 v[182:183], v[138:139], s[30:31], v[184:185]
	v_add_f64 v[10:11], v[58:59], v[10:11]
	v_fma_f64 v[58:59], v[138:139], s[30:31], -v[184:185]
	v_add_f64 v[70:71], v[70:71], v[2:3]
	v_add_f64 v[56:57], v[56:57], v[2:3]
	;; [unrolled: 1-line block ×5, first 2 shown]
	v_mul_f64 v[38:39], v[128:129], s[8:9]
	v_add_f64 v[10:11], v[54:55], v[10:11]
	v_fma_f64 v[54:55], v[138:139], s[26:27], v[134:135]
	v_fma_f64 v[134:135], v[138:139], s[18:19], v[144:145]
	v_fma_f64 v[138:139], v[138:139], s[18:19], -v[144:145]
	v_add_f64 v[144:145], v[188:189], v[2:3]
	v_add_f64 v[70:71], v[194:195], v[70:71]
	;; [unrolled: 1-line block ×8, first 2 shown]
	v_mul_f64 v[64:65], v[130:131], s[20:21]
	v_add_f64 v[34:35], v[58:59], v[34:35]
	v_mul_f64 v[58:59], v[130:131], s[38:39]
	v_add_f64 v[56:57], v[72:73], v[56:57]
	v_add_f64 v[10:11], v[46:47], v[10:11]
	;; [unrolled: 1-line block ×8, first 2 shown]
	v_fma_f64 v[72:73], v[128:129], s[18:19], v[64:65]
	v_add_f64 v[10:11], v[30:31], v[10:11]
	v_add_f64 v[30:31], v[180:181], v[170:171]
	;; [unrolled: 1-line block ×3, first 2 shown]
	v_fma_f64 v[64:65], v[128:129], s[18:19], -v[64:65]
	v_add_f64 v[62:63], v[68:69], v[112:113]
	v_add_f64 v[18:19], v[18:19], v[50:51]
	;; [unrolled: 1-line block ×3, first 2 shown]
	v_fma_f64 v[68:69], v[128:129], s[46:47], -v[186:187]
	v_add_f64 v[10:11], v[26:27], v[10:11]
	v_add_f64 v[26:27], v[54:55], v[106:107]
	;; [unrolled: 1-line block ×3, first 2 shown]
	v_fma_f64 v[66:67], v[128:129], s[46:47], v[186:187]
	v_add_f64 v[2:3], v[138:139], v[2:3]
	v_mul_f64 v[70:71], v[130:131], s[24:25]
	v_fma_f64 v[74:75], v[128:129], s[44:45], v[58:59]
	v_fma_f64 v[58:59], v[128:129], s[44:45], -v[58:59]
	v_mul_f64 v[152:153], v[128:129], s[14:15]
	v_add_f64 v[10:11], v[22:23], v[10:11]
	v_add_f64 v[22:23], v[136:137], v[30:31]
	;; [unrolled: 1-line block ×3, first 2 shown]
	v_mul_f64 v[66:67], v[130:131], s[2:3]
	v_add_f64 v[30:31], v[182:183], v[108:109]
	v_add_f64 v[60:61], v[140:141], v[60:61]
	v_add_f64 v[54:55], v[68:69], v[54:55]
	v_fma_f64 v[68:69], v[128:129], s[22:23], v[70:71]
	v_add_f64 v[18:19], v[64:65], v[18:19]
	v_fma_f64 v[64:65], v[128:129], s[22:23], -v[70:71]
	v_add_f64 v[2:3], v[58:59], v[2:3]
	v_fma_f64 v[70:71], v[128:129], s[26:27], v[66:67]
	v_fma_f64 v[58:59], v[128:129], s[26:27], -v[66:67]
	v_mul_f64 v[66:67], v[122:123], s[52:53]
	v_add_f64 v[38:39], v[38:39], v[126:127]
	v_add_f64 v[50:51], v[68:69], v[50:51]
	;; [unrolled: 1-line block ×4, first 2 shown]
	v_mul_f64 v[64:65], v[122:123], s[54:55]
	v_add_f64 v[30:31], v[70:71], v[30:31]
	v_add_f64 v[34:35], v[58:59], v[34:35]
	v_mul_f64 v[58:59], v[122:123], s[34:35]
	v_fma_f64 v[70:71], v[116:117], s[44:45], v[66:67]
	v_add_f64 v[38:39], v[38:39], v[60:61]
	v_fma_f64 v[60:61], v[116:117], s[44:45], -v[66:67]
	v_mul_f64 v[66:67], v[122:123], s[2:3]
	v_mul_f64 v[154:155], v[116:117], s[46:47]
	v_add_f64 v[46:47], v[176:177], v[46:47]
	v_add_f64 v[62:63], v[72:73], v[62:63]
	;; [unrolled: 1-line block ×3, first 2 shown]
	v_fma_f64 v[68:69], v[116:117], s[14:15], v[64:65]
	v_fma_f64 v[64:65], v[116:117], s[14:15], -v[64:65]
	v_fma_f64 v[72:73], v[116:117], s[30:31], v[58:59]
	v_add_f64 v[26:27], v[70:71], v[26:27]
	v_mul_f64 v[70:71], v[122:123], s[20:21]
	v_fma_f64 v[58:59], v[116:117], s[30:31], -v[58:59]
	v_add_f64 v[54:55], v[60:61], v[54:55]
	v_fma_f64 v[60:61], v[116:117], s[26:27], v[66:67]
	v_mul_f64 v[156:157], v[116:117], s[22:23]
	v_add_f64 v[46:47], v[134:135], v[46:47]
	v_add_f64 v[62:63], v[68:69], v[62:63]
	v_add_f64 v[18:19], v[64:65], v[18:19]
	v_fma_f64 v[64:65], v[116:117], s[26:27], -v[66:67]
	v_fma_f64 v[66:67], v[116:117], s[18:19], v[70:71]
	v_add_f64 v[2:3], v[58:59], v[2:3]
	v_fma_f64 v[58:59], v[116:117], s[18:19], -v[70:71]
	v_add_f64 v[50:51], v[60:61], v[50:51]
	v_mul_f64 v[60:61], v[52:53], s[6:7]
	v_add_f64 v[68:69], v[154:155], v[110:111]
	v_add_f64 v[46:47], v[74:75], v[46:47]
	v_add_f64 v[70:71], v[156:157], v[114:115]
	v_add_f64 v[22:23], v[64:65], v[22:23]
	v_add_f64 v[30:31], v[66:67], v[30:31]
	v_mul_f64 v[64:65], v[52:53], s[38:39]
	v_add_f64 v[34:35], v[58:59], v[34:35]
	v_mul_f64 v[58:59], v[52:53], s[36:37]
	v_fma_f64 v[66:67], v[48:49], s[8:9], v[60:61]
	v_add_f64 v[56:57], v[68:69], v[56:57]
	v_fma_f64 v[60:61], v[48:49], s[8:9], -v[60:61]
	v_mul_f64 v[68:69], v[52:53], s[16:17]
	v_mul_f64 v[158:159], v[48:49], s[30:31]
	;; [unrolled: 1-line block ×3, first 2 shown]
	v_add_f64 v[46:47], v[72:73], v[46:47]
	v_add_f64 v[38:39], v[70:71], v[38:39]
	v_fma_f64 v[70:71], v[48:49], s[44:45], v[64:65]
	v_fma_f64 v[64:65], v[48:49], s[44:45], -v[64:65]
	v_fma_f64 v[72:73], v[48:49], s[22:23], v[58:59]
	v_fma_f64 v[58:59], v[48:49], s[22:23], -v[58:59]
	v_mul_f64 v[52:53], v[52:53], s[50:51]
	v_add_f64 v[54:55], v[60:61], v[54:55]
	v_fma_f64 v[60:61], v[48:49], s[14:15], v[68:69]
	v_add_f64 v[40:41], v[158:159], v[40:41]
	v_add_f64 v[44:45], v[160:161], v[44:45]
	;; [unrolled: 1-line block ×3, first 2 shown]
	v_fma_f64 v[64:65], v[48:49], s[14:15], -v[68:69]
	v_add_f64 v[2:3], v[58:59], v[2:3]
	v_fma_f64 v[58:59], v[48:49], s[46:47], v[52:53]
	v_fma_f64 v[48:49], v[48:49], s[46:47], -v[52:53]
	v_add_f64 v[50:51], v[60:61], v[50:51]
	v_mul_f64 v[52:53], v[36:37], s[16:17]
	v_mul_f64 v[60:61], v[36:37], s[28:29]
	v_add_f64 v[40:41], v[40:41], v[56:57]
	v_add_f64 v[38:39], v[44:45], v[38:39]
	v_mul_f64 v[162:163], v[32:33], s[18:19]
	v_add_f64 v[30:31], v[58:59], v[30:31]
	v_add_f64 v[34:35], v[48:49], v[34:35]
	v_mul_f64 v[48:49], v[36:37], s[42:43]
	v_fma_f64 v[58:59], v[32:33], s[14:15], v[52:53]
	v_fma_f64 v[44:45], v[32:33], s[14:15], -v[52:53]
	v_fma_f64 v[52:53], v[32:33], s[26:27], v[60:61]
	v_fma_f64 v[56:57], v[32:33], s[26:27], -v[60:61]
	v_mul_f64 v[60:61], v[36:37], s[48:49]
	v_add_f64 v[26:27], v[66:67], v[26:27]
	v_add_f64 v[22:23], v[64:65], v[22:23]
	v_fma_f64 v[64:65], v[32:33], s[46:47], v[48:49]
	v_mul_f64 v[36:37], v[36:37], s[36:37]
	v_fma_f64 v[48:49], v[32:33], s[46:47], -v[48:49]
	v_add_f64 v[44:45], v[44:45], v[54:55]
	v_mul_f64 v[164:165], v[32:33], s[30:31]
	v_fma_f64 v[54:55], v[32:33], s[8:9], v[60:61]
	v_add_f64 v[62:63], v[70:71], v[62:63]
	v_add_f64 v[26:27], v[58:59], v[26:27]
	;; [unrolled: 1-line block ×3, first 2 shown]
	v_fma_f64 v[56:57], v[32:33], s[8:9], -v[60:61]
	v_fma_f64 v[58:59], v[32:33], s[22:23], v[36:37]
	v_add_f64 v[2:3], v[48:49], v[2:3]
	v_fma_f64 v[32:33], v[32:33], s[22:23], -v[36:37]
	v_add_f64 v[28:29], v[162:163], v[28:29]
	v_mul_f64 v[36:37], v[20:21], s[20:21]
	v_add_f64 v[48:49], v[54:55], v[50:51]
	v_mul_f64 v[50:51], v[20:21], s[24:25]
	v_add_f64 v[24:25], v[164:165], v[24:25]
	v_add_f64 v[46:47], v[72:73], v[46:47]
	;; [unrolled: 1-line block ×5, first 2 shown]
	v_fma_f64 v[34:35], v[0:1], s[18:19], v[36:37]
	v_fma_f64 v[36:37], v[0:1], s[18:19], -v[36:37]
	v_fma_f64 v[40:41], v[0:1], s[22:23], v[50:51]
	v_mul_f64 v[54:55], v[20:21], s[16:17]
	v_fma_f64 v[50:51], v[0:1], s[22:23], -v[50:51]
	v_add_f64 v[24:25], v[24:25], v[38:39]
	v_mul_f64 v[38:39], v[20:21], s[34:35]
	v_mul_f64 v[20:21], v[20:21], s[6:7]
	;; [unrolled: 1-line block ×4, first 2 shown]
	v_add_f64 v[46:47], v[64:65], v[46:47]
	v_add_f64 v[26:27], v[34:35], v[26:27]
	;; [unrolled: 1-line block ×4, first 2 shown]
	v_fma_f64 v[40:41], v[0:1], s[14:15], v[54:55]
	v_add_f64 v[30:31], v[58:59], v[30:31]
	v_add_f64 v[18:19], v[50:51], v[18:19]
	v_fma_f64 v[50:51], v[0:1], s[30:31], v[38:39]
	v_fma_f64 v[52:53], v[0:1], s[8:9], v[20:21]
	v_add_f64 v[16:17], v[42:43], v[16:17]
	v_add_f64 v[8:9], v[166:167], v[8:9]
	;; [unrolled: 1-line block ×3, first 2 shown]
	v_fma_f64 v[44:45], v[0:1], s[14:15], -v[54:55]
	v_fma_f64 v[38:39], v[0:1], s[30:31], -v[38:39]
	;; [unrolled: 1-line block ×3, first 2 shown]
	v_add_f64 v[20:21], v[40:41], v[46:47]
	v_add_f64 v[40:41], v[50:51], v[48:49]
	;; [unrolled: 1-line block ×5, first 2 shown]
	v_lshlrev_b32_e32 v24, 7, v101
	v_add_f64 v[22:23], v[38:39], v[22:23]
	v_add_f64 v[0:1], v[0:1], v[32:33]
	v_add_f64 v[2:3], v[44:45], v[2:3]
	v_add3_u32 v24, v149, v24, v148
	ds_write2_b64 v24, v[10:11], v[26:27] offset1:1
	ds_write2_b64 v24, v[36:37], v[20:21] offset0:2 offset1:3
	ds_write2_b64 v24, v[40:41], v[30:31] offset0:4 offset1:5
	;; [unrolled: 1-line block ×7, first 2 shown]
	ds_write_b64 v24, v[34:35] offset:128
.LBB0_18:
	s_or_b64 exec, exec, s[40:41]
	v_add_u32_e32 v20, 0x400, v146
	v_add_u32_e32 v16, 0x800, v146
	s_waitcnt lgkmcnt(0)
	s_barrier
	ds_read2_b64 v[0:3], v146 offset0:68 offset1:170
	ds_read2_b64 v[8:11], v20 offset0:110 offset1:212
	;; [unrolled: 1-line block ×3, first 2 shown]
	ds_read_b64 v[32:33], v147
	ds_read_b64 v[34:35], v146 offset:4624
	s_and_saveexec_b64 s[2:3], s[0:1]
	s_cbranch_execz .LBB0_20
; %bb.19:
	ds_read2_b64 v[88:91], v20 offset0:8 offset1:178
	v_add_u32_e32 v20, 0xe00, v146
	ds_read2_b64 v[92:95], v20 offset0:28 offset1:198
.LBB0_20:
	s_or_b64 exec, exec, s[2:3]
	s_movk_i32 s2, 0xf1
	v_mul_lo_u16_sdwa v20, v101, s2 dst_sel:DWORD dst_unused:UNUSED_PAD src0_sel:BYTE_0 src1_sel:DWORD
	v_add_u16_e32 v25, 0x44, v101
	v_lshrrev_b16_e32 v44, 12, v20
	v_mul_lo_u16_sdwa v26, v25, s2 dst_sel:DWORD dst_unused:UNUSED_PAD src0_sel:BYTE_0 src1_sel:DWORD
	v_mul_lo_u16_e32 v20, 17, v44
	v_lshrrev_b16_e32 v65, 12, v26
	v_sub_u16_e32 v45, v101, v20
	v_mov_b32_e32 v46, 3
	v_mul_lo_u16_e32 v26, 17, v65
	v_mul_u32_u24_sdwa v20, v45, v46 dst_sel:DWORD dst_unused:UNUSED_PAD src0_sel:BYTE_0 src1_sel:DWORD
	v_sub_u16_e32 v66, v25, v26
	v_lshlrev_b32_e32 v24, 4, v20
	v_mul_u32_u24_sdwa v25, v66, v46 dst_sel:DWORD dst_unused:UNUSED_PAD src0_sel:BYTE_0 src1_sel:DWORD
	global_load_dwordx4 v[20:23], v24, s[12:13] offset:16
	global_load_dwordx4 v[36:39], v24, s[12:13]
	global_load_dwordx4 v[40:43], v24, s[12:13] offset:32
	v_lshlrev_b32_e32 v24, 4, v25
	global_load_dwordx4 v[49:52], v24, s[12:13]
	global_load_dwordx4 v[28:31], v24, s[12:13] offset:16
	global_load_dwordx4 v[53:56], v24, s[12:13] offset:32
	v_add_u16_e32 v24, 0x88, v101
	v_mul_lo_u16_sdwa v25, v24, s2 dst_sel:DWORD dst_unused:UNUSED_PAD src0_sel:BYTE_0 src1_sel:DWORD
	v_lshrrev_b16_e32 v47, 12, v25
	v_mul_lo_u16_e32 v25, 17, v47
	v_sub_u16_e32 v48, v24, v25
	v_mul_u32_u24_sdwa v24, v48, v46 dst_sel:DWORD dst_unused:UNUSED_PAD src0_sel:BYTE_0 src1_sel:DWORD
	v_lshlrev_b32_e32 v67, 4, v24
	global_load_dwordx4 v[57:60], v67, s[12:13]
	global_load_dwordx4 v[61:64], v67, s[12:13] offset:32
	global_load_dwordx4 v[24:27], v67, s[12:13] offset:16
	s_movk_i32 s6, 0x220
	v_mad_u32_u24 v75, v44, s6, 0
	v_mad_u32_u24 v106, v65, s6, 0
	v_lshlrev_b32_sdwa v107, v46, v45 dst_sel:DWORD dst_unused:UNUSED_PAD src0_sel:DWORD src1_sel:BYTE_0
	v_lshlrev_b32_sdwa v108, v46, v66 dst_sel:DWORD dst_unused:UNUSED_PAD src0_sel:DWORD src1_sel:BYTE_0
	s_waitcnt vmcnt(0) lgkmcnt(0)
	s_barrier
	v_mul_f64 v[65:66], v[10:11], v[22:23]
	v_mul_f64 v[44:45], v[2:3], v[38:39]
	;; [unrolled: 1-line block ×9, first 2 shown]
	v_fma_f64 v[86:87], v[86:87], v[36:37], -v[44:45]
	v_fma_f64 v[44:45], v[78:79], v[20:21], -v[65:66]
	;; [unrolled: 1-line block ×6, first 2 shown]
	v_mul_f64 v[55:56], v[104:105], v[55:56]
	v_fma_f64 v[2:3], v[2:3], v[36:37], v[38:39]
	v_fma_f64 v[36:37], v[18:19], v[40:41], v[42:43]
	;; [unrolled: 1-line block ×3, first 2 shown]
	v_add_f64 v[38:39], v[102:103], -v[44:45]
	v_add_f64 v[8:9], v[86:87], -v[65:66]
	;; [unrolled: 1-line block ×4, first 2 shown]
	v_fma_f64 v[34:35], v[34:35], v[53:54], v[55:56]
	v_mul_f64 v[49:50], v[90:91], v[59:60]
	v_mul_f64 v[53:54], v[14:15], v[59:60]
	v_add_f64 v[44:45], v[2:3], -v[36:37]
	v_fma_f64 v[36:37], v[102:103], 2.0, -v[38:39]
	v_fma_f64 v[55:56], v[86:87], 2.0, -v[8:9]
	v_fma_f64 v[59:60], v[84:85], 2.0, -v[51:52]
	v_fma_f64 v[65:66], v[67:68], 2.0, -v[18:19]
	v_mul_f64 v[67:68], v[94:95], v[63:64]
	v_mul_f64 v[63:64], v[6:7], v[63:64]
	v_add_f64 v[42:43], v[40:41], -v[34:35]
	v_fma_f64 v[14:15], v[14:15], v[57:58], -v[49:50]
	v_fma_f64 v[34:35], v[90:91], v[57:58], v[53:54]
	v_add_f64 v[53:54], v[38:39], -v[44:45]
	v_add_f64 v[55:56], v[36:37], -v[55:56]
	;; [unrolled: 1-line block ×3, first 2 shown]
	v_fma_f64 v[6:7], v[6:7], v[61:62], -v[67:68]
	v_fma_f64 v[61:62], v[94:95], v[61:62], v[63:64]
	v_add_f64 v[57:58], v[51:52], -v[42:43]
	v_add3_u32 v50, v75, v107, v148
	v_add3_u32 v49, v106, v108, v148
	v_fma_f64 v[63:64], v[38:39], 2.0, -v[53:54]
	v_fma_f64 v[67:68], v[36:37], 2.0, -v[55:56]
	;; [unrolled: 1-line block ×3, first 2 shown]
	v_add_f64 v[36:37], v[14:15], -v[6:7]
	v_add_f64 v[38:39], v[34:35], -v[61:62]
	v_fma_f64 v[51:52], v[51:52], 2.0, -v[57:58]
	ds_write2_b64 v50, v[55:56], v[53:54] offset0:34 offset1:51
	ds_write2_b64 v50, v[67:68], v[63:64] offset1:17
	ds_write2_b64 v49, v[59:60], v[51:52] offset1:17
	ds_write2_b64 v49, v[65:66], v[57:58] offset0:34 offset1:51
	s_and_saveexec_b64 s[2:3], s[0:1]
	s_cbranch_execz .LBB0_22
; %bb.21:
	v_mul_f64 v[6:7], v[92:93], v[26:27]
	v_fma_f64 v[14:15], v[14:15], 2.0, -v[36:37]
	v_mad_u32_u24 v53, v47, s6, 0
	v_lshlrev_b32_sdwa v46, v46, v48 dst_sel:DWORD dst_unused:UNUSED_PAD src0_sel:DWORD src1_sel:BYTE_0
	v_add3_u32 v46, v53, v46, v148
	v_fma_f64 v[6:7], v[4:5], v[24:25], -v[6:7]
	v_add_f64 v[6:7], v[12:13], -v[6:7]
	v_fma_f64 v[12:13], v[12:13], 2.0, -v[6:7]
	v_add_f64 v[51:52], v[6:7], -v[38:39]
	v_add_f64 v[14:15], v[12:13], -v[14:15]
	v_fma_f64 v[6:7], v[6:7], 2.0, -v[51:52]
	v_fma_f64 v[12:13], v[12:13], 2.0, -v[14:15]
	ds_write2_b64 v46, v[12:13], v[6:7] offset1:17
	ds_write2_b64 v46, v[14:15], v[51:52] offset0:34 offset1:51
.LBB0_22:
	s_or_b64 exec, exec, s[2:3]
	v_mul_f64 v[6:7], v[78:79], v[22:23]
	v_mul_f64 v[12:13], v[80:81], v[30:31]
	v_fma_f64 v[14:15], v[40:41], 2.0, -v[42:43]
	v_add_u32_e32 v42, 0x400, v146
	s_waitcnt lgkmcnt(0)
	s_barrier
	v_add_u32_e32 v46, 0x800, v146
	v_fma_f64 v[6:7], v[10:11], v[20:21], v[6:7]
	v_fma_f64 v[10:11], v[16:17], v[28:29], v[12:13]
	v_add_u32_e32 v53, 0xc00, v146
	v_add_f64 v[12:13], v[32:33], -v[6:7]
	v_add_f64 v[10:11], v[0:1], -v[10:11]
	v_fma_f64 v[6:7], v[2:3], 2.0, -v[44:45]
	v_fma_f64 v[16:17], v[32:33], 2.0, -v[12:13]
	;; [unrolled: 1-line block ×3, first 2 shown]
	v_add_f64 v[28:29], v[12:13], v[8:9]
	v_add_f64 v[30:31], v[10:11], v[18:19]
	ds_read2_b64 v[0:3], v146 offset0:68 offset1:136
	v_add_f64 v[32:33], v[16:17], -v[6:7]
	v_add_f64 v[40:41], v[22:23], -v[14:15]
	ds_read_b64 v[18:19], v147
	ds_read_b64 v[20:21], v146 offset:4896
	ds_read2_b64 v[6:9], v42 offset0:76 offset1:144
	v_fma_f64 v[42:43], v[12:13], 2.0, -v[28:29]
	v_fma_f64 v[44:45], v[10:11], 2.0, -v[30:31]
	;; [unrolled: 1-line block ×4, first 2 shown]
	ds_read2_b64 v[14:17], v46 offset0:84 offset1:152
	ds_read2_b64 v[10:13], v53 offset0:92 offset1:160
	s_waitcnt lgkmcnt(0)
	s_barrier
	ds_write2_b64 v50, v[32:33], v[28:29] offset0:34 offset1:51
	ds_write2_b64 v50, v[51:52], v[42:43] offset1:17
	ds_write2_b64 v49, v[22:23], v[44:45] offset1:17
	ds_write2_b64 v49, v[40:41], v[30:31] offset0:34 offset1:51
	s_and_saveexec_b64 s[2:3], s[0:1]
	s_cbranch_execz .LBB0_24
; %bb.23:
	v_mul_f64 v[4:5], v[4:5], v[26:27]
	v_fma_f64 v[22:23], v[34:35], 2.0, -v[38:39]
	s_movk_i32 s0, 0x220
	v_mov_b32_e32 v28, 3
	v_mad_u32_u24 v29, v47, s0, 0
	v_lshlrev_b32_sdwa v28, v28, v48 dst_sel:DWORD dst_unused:UNUSED_PAD src0_sel:DWORD src1_sel:BYTE_0
	v_add3_u32 v28, v29, v28, v148
	v_fma_f64 v[4:5], v[92:93], v[24:25], v[4:5]
	v_add_f64 v[4:5], v[88:89], -v[4:5]
	v_fma_f64 v[24:25], v[88:89], 2.0, -v[4:5]
	v_add_f64 v[26:27], v[4:5], v[36:37]
	v_add_f64 v[22:23], v[24:25], -v[22:23]
	v_fma_f64 v[4:5], v[4:5], 2.0, -v[26:27]
	v_fma_f64 v[24:25], v[24:25], 2.0, -v[22:23]
	ds_write2_b64 v28, v[24:25], v[4:5] offset1:17
	ds_write2_b64 v28, v[22:23], v[26:27] offset0:34 offset1:51
.LBB0_24:
	s_or_b64 exec, exec, s[2:3]
	s_waitcnt lgkmcnt(0)
	s_barrier
	s_and_saveexec_b64 s[0:1], vcc
	s_cbranch_execz .LBB0_26
; %bb.25:
	v_mul_u32_u24_e32 v4, 9, v101
	v_lshlrev_b32_e32 v4, 4, v4
	global_load_dwordx4 v[22:25], v4, s[12:13] offset:832
	global_load_dwordx4 v[26:29], v4, s[12:13] offset:864
	;; [unrolled: 1-line block ×9, first 2 shown]
	v_add_u32_e32 v62, 0x400, v146
	v_add_u32_e32 v66, 0xc00, v146
	;; [unrolled: 1-line block ×3, first 2 shown]
	ds_read2_b64 v[58:61], v146 offset0:68 offset1:136
	ds_read_b64 v[4:5], v147
	ds_read_b64 v[76:77], v146 offset:4896
	ds_read2_b64 v[62:65], v62 offset0:76 offset1:144
	ds_read2_b64 v[66:69], v66 offset0:92 offset1:160
	;; [unrolled: 1-line block ×3, first 2 shown]
	v_mul_lo_u32 v78, s5, v98
	v_mul_lo_u32 v79, s4, v99
	v_mad_u64_u32 v[74:75], s[0:1], s4, v98, 0
	s_mov_b32 s2, 0x134454ff
	s_mov_b32 s3, 0x3fee6f0e
	v_add3_u32 v75, v75, v79, v78
	s_mov_b32 s7, 0xbfee6f0e
	s_mov_b32 s6, s2
	;; [unrolled: 1-line block ×10, first 2 shown]
	v_mov_b32_e32 v101, 0
	s_waitcnt vmcnt(8)
	v_mul_f64 v[78:79], v[2:3], v[24:25]
	s_waitcnt vmcnt(7)
	v_mul_f64 v[80:81], v[8:9], v[28:29]
	;; [unrolled: 2-line block ×4, first 2 shown]
	s_waitcnt lgkmcnt(2)
	v_mul_f64 v[28:29], v[64:65], v[28:29]
	v_mul_f64 v[24:25], v[60:61], v[24:25]
	s_waitcnt lgkmcnt(1)
	v_mul_f64 v[32:33], v[68:69], v[32:33]
	s_waitcnt vmcnt(4)
	v_mul_f64 v[86:87], v[62:63], v[40:41]
	s_waitcnt vmcnt(3) lgkmcnt(0)
	v_mul_f64 v[88:89], v[70:71], v[44:45]
	s_waitcnt vmcnt(2)
	v_mul_f64 v[90:91], v[76:77], v[48:49]
	s_waitcnt vmcnt(1)
	v_mul_f64 v[92:93], v[66:67], v[52:53]
	v_mul_f64 v[44:45], v[14:15], v[44:45]
	;; [unrolled: 1-line block ×4, first 2 shown]
	s_waitcnt vmcnt(0)
	v_mul_f64 v[94:95], v[58:59], v[56:57]
	v_mul_f64 v[40:41], v[6:7], v[40:41]
	;; [unrolled: 1-line block ×4, first 2 shown]
	v_fma_f64 v[60:61], v[60:61], v[22:23], v[78:79]
	v_fma_f64 v[64:65], v[64:65], v[26:27], v[80:81]
	;; [unrolled: 1-line block ×4, first 2 shown]
	v_fma_f64 v[8:9], v[8:9], v[26:27], -v[28:29]
	v_fma_f64 v[22:23], v[2:3], v[22:23], -v[24:25]
	;; [unrolled: 1-line block ×7, first 2 shown]
	v_fma_f64 v[28:29], v[42:43], v[70:71], v[44:45]
	v_fma_f64 v[30:31], v[50:51], v[66:67], v[52:53]
	v_fma_f64 v[16:17], v[16:17], v[34:35], -v[36:37]
	v_fma_f64 v[0:1], v[0:1], v[54:55], -v[94:95]
	v_fma_f64 v[2:3], v[38:39], v[62:63], v[40:41]
	v_fma_f64 v[26:27], v[46:47], v[76:77], v[48:49]
	;; [unrolled: 1-line block ×3, first 2 shown]
	v_add_f64 v[32:33], v[60:61], -v[64:65]
	v_add_f64 v[34:35], v[68:69], -v[72:73]
	v_add_f64 v[38:39], v[64:65], v[72:73]
	v_add_f64 v[42:43], v[24:25], -v[14:15]
	v_add_f64 v[44:45], v[20:21], -v[10:11]
	v_add_f64 v[46:47], v[14:15], v[10:11]
	v_add_f64 v[58:59], v[28:29], v[30:31]
	;; [unrolled: 1-line block ×4, first 2 shown]
	v_add_f64 v[36:37], v[8:9], -v[16:17]
	v_add_f64 v[48:49], v[2:3], -v[26:27]
	;; [unrolled: 1-line block ×9, first 2 shown]
	v_add_f64 v[88:89], v[2:3], v[26:27]
	v_add_f64 v[90:91], v[60:61], v[4:5]
	;; [unrolled: 1-line block ×3, first 2 shown]
	v_fma_f64 v[34:35], v[38:39], -0.5, v[4:5]
	v_add_f64 v[38:39], v[42:43], v[44:45]
	v_fma_f64 v[42:43], v[46:47], -0.5, v[0:1]
	v_fma_f64 v[44:45], v[58:59], -0.5, v[6:7]
	;; [unrolled: 1-line block ×4, first 2 shown]
	v_add_f64 v[40:41], v[22:23], -v[12:13]
	v_add_f64 v[56:57], v[14:15], -v[10:11]
	;; [unrolled: 1-line block ×5, first 2 shown]
	v_add_f64 v[92:93], v[2:3], v[6:7]
	v_fma_f64 v[6:7], v[88:89], -0.5, v[6:7]
	v_add_f64 v[46:47], v[52:53], v[54:55]
	v_add_f64 v[52:53], v[66:67], v[70:71]
	v_add_f64 v[66:67], v[84:85], v[86:87]
	v_fma_f64 v[82:83], v[48:49], s[6:7], v[42:43]
	v_fma_f64 v[84:85], v[36:37], s[6:7], v[4:5]
	;; [unrolled: 1-line block ×6, first 2 shown]
	v_add_f64 v[2:3], v[8:9], v[16:17]
	v_add_f64 v[54:55], v[78:79], v[80:81]
	v_fma_f64 v[70:71], v[62:63], s[2:3], v[44:45]
	v_fma_f64 v[76:77], v[56:57], s[6:7], v[6:7]
	;; [unrolled: 1-line block ×8, first 2 shown]
	v_add_f64 v[60:61], v[60:61], -v[68:69]
	v_add_f64 v[78:79], v[64:65], v[90:91]
	v_fma_f64 v[80:81], v[2:3], -0.5, v[18:19]
	v_fma_f64 v[2:3], v[40:41], s[2:3], v[34:35]
	v_fma_f64 v[70:71], v[56:57], s[4:5], v[70:71]
	;; [unrolled: 1-line block ×11, first 2 shown]
	v_add_f64 v[28:29], v[28:29], v[92:93]
	v_fma_f64 v[70:71], v[46:47], s[0:1], v[70:71]
	v_fma_f64 v[76:77], v[66:67], s[0:1], v[76:77]
	;; [unrolled: 1-line block ×6, first 2 shown]
	v_mul_f64 v[42:43], v[48:49], s[6:7]
	v_fma_f64 v[34:35], v[36:37], s[8:9], v[34:35]
	v_fma_f64 v[36:37], v[46:47], s[0:1], v[40:41]
	v_mul_f64 v[40:41], v[4:5], s[8:9]
	v_add_f64 v[46:47], v[72:73], v[78:79]
	v_add_f64 v[52:53], v[22:23], -v[8:9]
	v_add_f64 v[56:57], v[12:13], -v[16:17]
	v_fma_f64 v[66:67], v[60:61], s[6:7], v[80:81]
	v_add_f64 v[78:79], v[22:23], v[12:13]
	v_add_f64 v[64:65], v[64:65], -v[72:73]
	v_add_f64 v[28:29], v[30:31], v[28:29]
	v_fma_f64 v[50:51], v[32:33], s[0:1], v[2:3]
	v_fma_f64 v[30:31], v[38:39], s[0:1], v[42:43]
	;; [unrolled: 1-line block ×4, first 2 shown]
	v_add_f64 v[40:41], v[68:69], v[46:47]
	v_add_f64 v[42:43], v[52:53], v[56:57]
	v_fma_f64 v[46:47], v[78:79], -0.5, v[18:19]
	v_fma_f64 v[52:53], v[64:65], s[8:9], v[66:67]
	v_add_f64 v[28:29], v[26:27], v[28:29]
	v_mul_f64 v[26:27], v[58:59], s[12:13]
	v_add_f64 v[18:19], v[18:19], v[22:23]
	v_add_f64 v[0:1], v[24:25], v[0:1]
	v_fma_f64 v[82:83], v[54:55], s[0:1], v[86:87]
	v_mul_f64 v[86:87], v[70:71], s[12:13]
	v_add_f64 v[56:57], v[8:9], -v[22:23]
	v_fma_f64 v[24:25], v[42:43], s[0:1], v[52:53]
	v_fma_f64 v[22:23], v[64:65], s[2:3], v[46:47]
	v_fma_f64 v[52:53], v[70:71], s[4:5], -v[26:27]
	v_fma_f64 v[26:27], v[60:61], s[2:3], v[80:81]
	v_add_f64 v[8:9], v[18:19], v[8:9]
	v_add_f64 v[0:1], v[14:15], v[0:1]
	v_fma_f64 v[54:55], v[58:59], s[8:9], -v[86:87]
	v_add_f64 v[58:59], v[16:17], -v[12:13]
	v_fma_f64 v[46:47], v[64:65], s[6:7], v[46:47]
	v_mul_f64 v[36:37], v[36:37], s[4:5]
	v_fma_f64 v[14:15], v[60:61], s[8:9], v[22:23]
	v_fma_f64 v[26:27], v[64:65], s[4:5], v[26:27]
	v_add_f64 v[8:9], v[8:9], v[16:17]
	v_add_f64 v[0:1], v[10:11], v[0:1]
	v_mul_f64 v[38:39], v[38:39], s[2:3]
	v_add_f64 v[56:57], v[56:57], v[58:59]
	v_fma_f64 v[22:23], v[60:61], s[4:5], v[46:47]
	v_mul_f64 v[88:89], v[76:77], s[0:1]
	v_mul_f64 v[18:19], v[82:83], s[0:1]
	v_fma_f64 v[42:43], v[42:43], s[0:1], v[26:27]
	v_fma_f64 v[36:37], v[4:5], s[12:13], v[36:37]
	v_add_f64 v[60:61], v[12:13], v[8:9]
	v_add_f64 v[64:65], v[20:21], v[0:1]
	v_fma_f64 v[46:47], v[56:57], s[0:1], v[14:15]
	v_fma_f64 v[56:57], v[56:57], s[0:1], v[22:23]
	;; [unrolled: 1-line block ×3, first 2 shown]
	v_fma_f64 v[84:85], v[82:83], s[6:7], -v[88:89]
	v_fma_f64 v[58:59], v[76:77], s[2:3], -v[18:19]
	v_add_f64 v[18:19], v[40:41], -v[28:29]
	v_add_f64 v[38:39], v[40:41], v[28:29]
	v_lshlrev_b64 v[40:41], 4, v[74:75]
	v_add_f64 v[14:15], v[32:33], -v[34:35]
	v_add_f64 v[12:13], v[42:43], -v[36:37]
	v_add_f64 v[34:35], v[32:33], v[34:35]
	v_add_f64 v[32:33], v[42:43], v[36:37]
	;; [unrolled: 1-line block ×3, first 2 shown]
	v_mov_b32_e32 v42, s11
	v_add_co_u32_e32 v43, vcc, s10, v40
	v_addc_co_u32_e32 v42, vcc, v42, v41, vcc
	v_lshlrev_b64 v[40:41], 4, v[96:97]
	v_add_f64 v[10:11], v[44:45], -v[30:31]
	v_add_f64 v[22:23], v[50:51], v[54:55]
	v_add_f64 v[30:31], v[44:45], v[30:31]
	;; [unrolled: 1-line block ×4, first 2 shown]
	v_add_f64 v[0:1], v[24:25], -v[52:53]
	v_add_f64 v[16:17], v[60:61], -v[64:65]
	v_add_f64 v[26:27], v[62:63], v[84:85]
	v_add_f64 v[24:25], v[46:47], v[58:59]
	v_add_co_u32_e32 v43, vcc, v43, v40
	v_add_f64 v[6:7], v[62:63], -v[84:85]
	v_add_f64 v[4:5], v[46:47], -v[58:59]
	v_addc_co_u32_e32 v42, vcc, v42, v41, vcc
	v_lshlrev_b64 v[40:41], 4, v[100:101]
	v_add_f64 v[2:3], v[50:51], -v[54:55]
	v_add_f64 v[8:9], v[56:57], -v[48:49]
	v_add_co_u32_e32 v40, vcc, v43, v40
	v_addc_co_u32_e32 v41, vcc, v42, v41, vcc
	s_movk_i32 s0, 0x1000
	global_store_dwordx4 v[40:41], v[36:39], off
	global_store_dwordx4 v[40:41], v[32:35], off offset:1088
	global_store_dwordx4 v[40:41], v[28:31], off offset:2176
	;; [unrolled: 1-line block ×3, first 2 shown]
	s_nop 0
	v_add_co_u32_e32 v24, vcc, s0, v40
	v_addc_co_u32_e32 v25, vcc, 0, v41, vcc
	global_store_dwordx4 v[24:25], v[20:23], off offset:256
	global_store_dwordx4 v[24:25], v[16:19], off offset:1344
	;; [unrolled: 1-line block ×4, first 2 shown]
	s_nop 0
	v_add_co_u32_e32 v8, vcc, 0x2000, v40
	v_addc_co_u32_e32 v9, vcc, 0, v41, vcc
	global_store_dwordx4 v[8:9], v[4:7], off offset:512
	global_store_dwordx4 v[8:9], v[0:3], off offset:1600
.LBB0_26:
	s_endpgm
	.section	.rodata,"a",@progbits
	.p2align	6, 0x0
	.amdhsa_kernel fft_rtc_fwd_len680_factors_17_4_10_wgs_204_tpt_68_halfLds_dp_op_CI_CI_unitstride_sbrr_dirReg
		.amdhsa_group_segment_fixed_size 0
		.amdhsa_private_segment_fixed_size 0
		.amdhsa_kernarg_size 104
		.amdhsa_user_sgpr_count 6
		.amdhsa_user_sgpr_private_segment_buffer 1
		.amdhsa_user_sgpr_dispatch_ptr 0
		.amdhsa_user_sgpr_queue_ptr 0
		.amdhsa_user_sgpr_kernarg_segment_ptr 1
		.amdhsa_user_sgpr_dispatch_id 0
		.amdhsa_user_sgpr_flat_scratch_init 0
		.amdhsa_user_sgpr_private_segment_size 0
		.amdhsa_uses_dynamic_stack 0
		.amdhsa_system_sgpr_private_segment_wavefront_offset 0
		.amdhsa_system_sgpr_workgroup_id_x 1
		.amdhsa_system_sgpr_workgroup_id_y 0
		.amdhsa_system_sgpr_workgroup_id_z 0
		.amdhsa_system_sgpr_workgroup_info 0
		.amdhsa_system_vgpr_workitem_id 0
		.amdhsa_next_free_vgpr 196
		.amdhsa_next_free_sgpr 60
		.amdhsa_reserve_vcc 1
		.amdhsa_reserve_flat_scratch 0
		.amdhsa_float_round_mode_32 0
		.amdhsa_float_round_mode_16_64 0
		.amdhsa_float_denorm_mode_32 3
		.amdhsa_float_denorm_mode_16_64 3
		.amdhsa_dx10_clamp 1
		.amdhsa_ieee_mode 1
		.amdhsa_fp16_overflow 0
		.amdhsa_exception_fp_ieee_invalid_op 0
		.amdhsa_exception_fp_denorm_src 0
		.amdhsa_exception_fp_ieee_div_zero 0
		.amdhsa_exception_fp_ieee_overflow 0
		.amdhsa_exception_fp_ieee_underflow 0
		.amdhsa_exception_fp_ieee_inexact 0
		.amdhsa_exception_int_div_zero 0
	.end_amdhsa_kernel
	.text
.Lfunc_end0:
	.size	fft_rtc_fwd_len680_factors_17_4_10_wgs_204_tpt_68_halfLds_dp_op_CI_CI_unitstride_sbrr_dirReg, .Lfunc_end0-fft_rtc_fwd_len680_factors_17_4_10_wgs_204_tpt_68_halfLds_dp_op_CI_CI_unitstride_sbrr_dirReg
                                        ; -- End function
	.section	.AMDGPU.csdata,"",@progbits
; Kernel info:
; codeLenInByte = 11824
; NumSgprs: 64
; NumVgprs: 196
; ScratchSize: 0
; MemoryBound: 1
; FloatMode: 240
; IeeeMode: 1
; LDSByteSize: 0 bytes/workgroup (compile time only)
; SGPRBlocks: 7
; VGPRBlocks: 48
; NumSGPRsForWavesPerEU: 64
; NumVGPRsForWavesPerEU: 196
; Occupancy: 1
; WaveLimiterHint : 1
; COMPUTE_PGM_RSRC2:SCRATCH_EN: 0
; COMPUTE_PGM_RSRC2:USER_SGPR: 6
; COMPUTE_PGM_RSRC2:TRAP_HANDLER: 0
; COMPUTE_PGM_RSRC2:TGID_X_EN: 1
; COMPUTE_PGM_RSRC2:TGID_Y_EN: 0
; COMPUTE_PGM_RSRC2:TGID_Z_EN: 0
; COMPUTE_PGM_RSRC2:TIDIG_COMP_CNT: 0
	.type	__hip_cuid_de8b7f2550f7d5ce,@object ; @__hip_cuid_de8b7f2550f7d5ce
	.section	.bss,"aw",@nobits
	.globl	__hip_cuid_de8b7f2550f7d5ce
__hip_cuid_de8b7f2550f7d5ce:
	.byte	0                               ; 0x0
	.size	__hip_cuid_de8b7f2550f7d5ce, 1

	.ident	"AMD clang version 19.0.0git (https://github.com/RadeonOpenCompute/llvm-project roc-6.4.0 25133 c7fe45cf4b819c5991fe208aaa96edf142730f1d)"
	.section	".note.GNU-stack","",@progbits
	.addrsig
	.addrsig_sym __hip_cuid_de8b7f2550f7d5ce
	.amdgpu_metadata
---
amdhsa.kernels:
  - .args:
      - .actual_access:  read_only
        .address_space:  global
        .offset:         0
        .size:           8
        .value_kind:     global_buffer
      - .offset:         8
        .size:           8
        .value_kind:     by_value
      - .actual_access:  read_only
        .address_space:  global
        .offset:         16
        .size:           8
        .value_kind:     global_buffer
      - .actual_access:  read_only
        .address_space:  global
        .offset:         24
        .size:           8
        .value_kind:     global_buffer
      - .actual_access:  read_only
        .address_space:  global
        .offset:         32
        .size:           8
        .value_kind:     global_buffer
      - .offset:         40
        .size:           8
        .value_kind:     by_value
      - .actual_access:  read_only
        .address_space:  global
        .offset:         48
        .size:           8
        .value_kind:     global_buffer
      - .actual_access:  read_only
        .address_space:  global
        .offset:         56
        .size:           8
        .value_kind:     global_buffer
      - .offset:         64
        .size:           4
        .value_kind:     by_value
      - .actual_access:  read_only
        .address_space:  global
        .offset:         72
        .size:           8
        .value_kind:     global_buffer
      - .actual_access:  read_only
        .address_space:  global
        .offset:         80
        .size:           8
        .value_kind:     global_buffer
      - .actual_access:  read_only
        .address_space:  global
        .offset:         88
        .size:           8
        .value_kind:     global_buffer
      - .actual_access:  write_only
        .address_space:  global
        .offset:         96
        .size:           8
        .value_kind:     global_buffer
    .group_segment_fixed_size: 0
    .kernarg_segment_align: 8
    .kernarg_segment_size: 104
    .language:       OpenCL C
    .language_version:
      - 2
      - 0
    .max_flat_workgroup_size: 204
    .name:           fft_rtc_fwd_len680_factors_17_4_10_wgs_204_tpt_68_halfLds_dp_op_CI_CI_unitstride_sbrr_dirReg
    .private_segment_fixed_size: 0
    .sgpr_count:     64
    .sgpr_spill_count: 0
    .symbol:         fft_rtc_fwd_len680_factors_17_4_10_wgs_204_tpt_68_halfLds_dp_op_CI_CI_unitstride_sbrr_dirReg.kd
    .uniform_work_group_size: 1
    .uses_dynamic_stack: false
    .vgpr_count:     196
    .vgpr_spill_count: 0
    .wavefront_size: 64
amdhsa.target:   amdgcn-amd-amdhsa--gfx906
amdhsa.version:
  - 1
  - 2
...

	.end_amdgpu_metadata
